;; amdgpu-corpus repo=ROCm/rocFFT kind=compiled arch=gfx950 opt=O3
	.text
	.amdgcn_target "amdgcn-amd-amdhsa--gfx950"
	.amdhsa_code_object_version 6
	.protected	bluestein_single_fwd_len990_dim1_dp_op_CI_CI ; -- Begin function bluestein_single_fwd_len990_dim1_dp_op_CI_CI
	.globl	bluestein_single_fwd_len990_dim1_dp_op_CI_CI
	.p2align	8
	.type	bluestein_single_fwd_len990_dim1_dp_op_CI_CI,@function
bluestein_single_fwd_len990_dim1_dp_op_CI_CI: ; @bluestein_single_fwd_len990_dim1_dp_op_CI_CI
; %bb.0:
	s_load_dwordx4 s[8:11], s[0:1], 0x28
	v_mul_u32_u24_e32 v1, 0x254, v0
	v_mov_b32_e32 v131, 0
	v_add_u32_sdwa v6, s2, v1 dst_sel:DWORD dst_unused:UNUSED_PAD src0_sel:DWORD src1_sel:WORD_1
	v_mov_b32_e32 v7, v131
	s_waitcnt lgkmcnt(0)
	v_cmp_gt_u64_e32 vcc, s[8:9], v[6:7]
	s_and_saveexec_b64 s[2:3], vcc
	s_cbranch_execz .LBB0_31
; %bb.1:
	s_load_dwordx4 s[4:7], s[0:1], 0x18
	s_load_dwordx2 s[14:15], s[0:1], 0x0
	v_mov_b32_e32 v2, s10
	v_mov_b32_e32 v3, s11
	s_movk_i32 s2, 0x6e
	s_waitcnt lgkmcnt(0)
	s_load_dwordx4 s[8:11], s[4:5], 0x0
	v_mul_lo_u16_sdwa v1, v1, s2 dst_sel:DWORD dst_unused:UNUSED_PAD src0_sel:WORD_1 src1_sel:DWORD
	v_sub_u16_e32 v130, v0, v1
	v_accvgpr_write_b32 a20, v6
	v_lshlrev_b32_e32 v180, 4, v130
	s_waitcnt lgkmcnt(0)
	v_mad_u64_u32 v[0:1], s[2:3], s10, v6, 0
	v_mov_b32_e32 v4, v1
	v_mad_u64_u32 v[4:5], s[2:3], s11, v6, v[4:5]
	v_mov_b32_e32 v1, v4
	v_mad_u64_u32 v[4:5], s[2:3], s8, v130, 0
	v_mov_b32_e32 v6, v5
	v_mad_u64_u32 v[6:7], s[2:3], s9, v130, v[6:7]
	s_mul_i32 s2, s9, 0x1ef
	s_mul_hi_u32 s3, s8, 0x1ef
	v_mov_b32_e32 v5, v6
	v_lshl_add_u64 v[0:1], v[0:1], 4, v[2:3]
	v_mov_b32_e32 v181, v131
	s_add_i32 s3, s3, s2
	s_mul_i32 s2, s8, 0x1ef
	v_lshl_add_u64 v[0:1], v[4:5], 4, v[0:1]
	v_lshl_add_u64 v[184:185], s[14:15], 0, v[180:181]
	s_lshl_b64 s[10:11], s[2:3], 4
	s_movk_i32 s4, 0x1000
	s_mul_hi_u32 s5, s8, 0xfffffe7f
	global_load_dwordx4 v[44:47], v180, s[14:15]
	v_lshl_add_u64 v[2:3], v[0:1], 0, s[10:11]
	global_load_dwordx4 v[4:7], v[0:1], off
	global_load_dwordx4 v[8:11], v[2:3], off
	v_add_co_u32_e32 v0, vcc, s4, v184
	s_mul_i32 s4, s9, 0xfffffe7f
	s_sub_i32 s5, s5, s8
	s_add_i32 s5, s5, s4
	s_mul_i32 s4, s8, 0xfffffe7f
	s_lshl_b64 s[8:9], s[4:5], 4
	v_addc_co_u32_e32 v1, vcc, 0, v185, vcc
	v_lshl_add_u64 v[2:3], v[2:3], 0, s[8:9]
	s_movk_i32 s12, 0x2000
	global_load_dwordx4 v[40:43], v[0:1], off offset:3824
	global_load_dwordx4 v[60:63], v180, s[14:15] offset:1760
	v_lshl_add_u64 v[20:21], v[2:3], 0, s[10:11]
	global_load_dwordx4 v[12:15], v[2:3], off
	global_load_dwordx4 v[16:19], v[20:21], off
	v_add_co_u32_e32 v2, vcc, s12, v184
	v_lshl_add_u64 v[24:25], v[20:21], 0, s[8:9]
	s_nop 0
	v_addc_co_u32_e32 v3, vcc, 0, v185, vcc
	global_load_dwordx4 v[68:71], v[2:3], off offset:1488
	v_lshl_add_u64 v[28:29], v[24:25], 0, s[10:11]
	global_load_dwordx4 v[20:23], v[24:25], off
	global_load_dwordx4 v[52:55], v180, s[14:15] offset:3520
	s_nop 0
	global_load_dwordx4 v[24:27], v[28:29], off
	global_load_dwordx4 v[48:51], v[2:3], off offset:3248
	v_lshl_add_u64 v[2:3], v[28:29], 0, s[8:9]
	s_movk_i32 s8, 0x3000
	global_load_dwordx4 v[28:31], v[2:3], off
	global_load_dwordx4 v[56:59], v[0:1], off offset:1184
	v_add_co_u32_e32 v0, vcc, s8, v184
	v_lshl_add_u64 v[2:3], v[2:3], 0, s[10:11]
	s_nop 0
	v_addc_co_u32_e32 v1, vcc, 0, v185, vcc
	global_load_dwordx4 v[64:67], v[0:1], off offset:912
	global_load_dwordx4 v[32:35], v[2:3], off
	s_load_dwordx2 s[12:13], s[0:1], 0x38
	s_load_dwordx4 s[8:11], s[6:7], 0x0
	v_cmp_gt_u16_e64 s[6:7], 55, v130
	s_waitcnt vmcnt(15)
	v_accvgpr_write_b32 a8, v44
	s_waitcnt vmcnt(14)
	v_mul_f64 v[36:37], v[6:7], v[46:47]
	v_mul_f64 v[38:39], v[4:5], v[46:47]
	v_fmac_f64_e32 v[36:37], v[4:5], v[44:45]
	v_fma_f64 v[38:39], v[6:7], v[44:45], -v[38:39]
	v_accvgpr_write_b32 a9, v45
	v_accvgpr_write_b32 a10, v46
	;; [unrolled: 1-line block ×3, first 2 shown]
	ds_write_b128 v180, v[36:39]
	s_waitcnt vmcnt(12)
	v_mul_f64 v[4:5], v[10:11], v[42:43]
	v_mul_f64 v[6:7], v[8:9], v[42:43]
	v_fmac_f64_e32 v[4:5], v[8:9], v[40:41]
	v_fma_f64 v[6:7], v[10:11], v[40:41], -v[6:7]
	ds_write_b128 v180, v[4:7] offset:7920
	s_waitcnt vmcnt(10)
	v_mul_f64 v[8:9], v[14:15], v[62:63]
	v_mul_f64 v[10:11], v[12:13], v[62:63]
	v_fmac_f64_e32 v[8:9], v[12:13], v[60:61]
	v_fma_f64 v[10:11], v[14:15], v[60:61], -v[10:11]
	s_waitcnt vmcnt(8)
	v_mul_f64 v[4:5], v[18:19], v[70:71]
	v_mul_f64 v[6:7], v[16:17], v[70:71]
	v_fmac_f64_e32 v[4:5], v[16:17], v[68:69]
	v_fma_f64 v[6:7], v[18:19], v[68:69], -v[6:7]
	ds_write_b128 v180, v[4:7] offset:9680
	s_waitcnt vmcnt(4)
	v_mul_f64 v[4:5], v[26:27], v[50:51]
	v_mul_f64 v[6:7], v[24:25], v[50:51]
	v_fmac_f64_e32 v[4:5], v[24:25], v[48:49]
	v_fma_f64 v[6:7], v[26:27], v[48:49], -v[6:7]
	ds_write_b128 v180, v[4:7] offset:11440
	s_waitcnt vmcnt(2)
	v_mul_f64 v[4:5], v[30:31], v[58:59]
	v_mul_f64 v[6:7], v[28:29], v[58:59]
	v_fmac_f64_e32 v[4:5], v[28:29], v[56:57]
	v_fma_f64 v[6:7], v[30:31], v[56:57], -v[6:7]
	v_accvgpr_write_b32 a4, v40
	v_accvgpr_write_b32 a26, v60
	ds_write_b128 v180, v[8:11] offset:1760
	v_accvgpr_write_b32 a34, v68
	v_mul_f64 v[8:9], v[22:23], v[54:55]
	v_mul_f64 v[10:11], v[20:21], v[54:55]
	v_accvgpr_write_b32 a16, v52
	v_accvgpr_write_b32 a12, v48
	;; [unrolled: 1-line block ×3, first 2 shown]
	ds_write_b128 v180, v[4:7] offset:5280
	s_waitcnt vmcnt(0)
	v_mul_f64 v[4:5], v[34:35], v[66:67]
	v_mul_f64 v[6:7], v[32:33], v[66:67]
	v_accvgpr_write_b32 a30, v64
	v_accvgpr_write_b32 a5, v41
	;; [unrolled: 1-line block ×10, first 2 shown]
	v_fmac_f64_e32 v[8:9], v[20:21], v[52:53]
	v_accvgpr_write_b32 a17, v53
	v_accvgpr_write_b32 a18, v54
	;; [unrolled: 1-line block ×3, first 2 shown]
	v_fma_f64 v[10:11], v[22:23], v[52:53], -v[10:11]
	v_accvgpr_write_b32 a13, v49
	v_accvgpr_write_b32 a14, v50
	;; [unrolled: 1-line block ×6, first 2 shown]
	v_fmac_f64_e32 v[4:5], v[32:33], v[64:65]
	v_accvgpr_write_b32 a31, v65
	v_accvgpr_write_b32 a32, v66
	;; [unrolled: 1-line block ×3, first 2 shown]
	v_fma_f64 v[6:7], v[34:35], v[64:65], -v[6:7]
	ds_write_b128 v180, v[8:11] offset:3520
	ds_write_b128 v180, v[4:7] offset:13200
	s_and_saveexec_b64 s[16:17], s[6:7]
	s_cbranch_execz .LBB0_3
; %bb.2:
	v_add_co_u32_e32 v6, vcc, 0x1000, v184
	v_lshl_add_u64 v[10:11], s[4:5], 4, v[2:3]
	s_nop 0
	v_addc_co_u32_e32 v7, vcc, 0, v185, vcc
	global_load_dwordx4 v[2:5], v[10:11], off
	v_lshl_add_u64 v[18:19], s[2:3], 4, v[10:11]
	global_load_dwordx4 v[6:9], v[6:7], off offset:2944
	s_nop 0
	global_load_dwordx4 v[10:13], v[0:1], off offset:2672
	global_load_dwordx4 v[14:17], v[18:19], off
	s_waitcnt vmcnt(2)
	v_mul_f64 v[0:1], v[4:5], v[8:9]
	v_mul_f64 v[18:19], v[2:3], v[8:9]
	s_waitcnt vmcnt(0)
	v_mul_f64 v[8:9], v[16:17], v[12:13]
	v_mul_f64 v[12:13], v[14:15], v[12:13]
	v_fmac_f64_e32 v[0:1], v[2:3], v[6:7]
	v_fma_f64 v[2:3], v[4:5], v[6:7], -v[18:19]
	v_fmac_f64_e32 v[8:9], v[14:15], v[10:11]
	v_fma_f64 v[10:11], v[16:17], v[10:11], -v[12:13]
	ds_write_b128 v180, v[0:3] offset:7040
	ds_write_b128 v180, v[8:11] offset:14960
.LBB0_3:
	s_or_b64 exec, exec, s[16:17]
	s_waitcnt lgkmcnt(0)
	s_barrier
	ds_read_b128 v[64:67], v180
	ds_read_b128 v[52:55], v180 offset:1760
	ds_read_b128 v[68:71], v180 offset:7920
	;; [unrolled: 1-line block ×7, first 2 shown]
	s_load_dwordx2 s[0:1], s[0:1], 0x8
                                        ; implicit-def: $vgpr32_vgpr33
                                        ; implicit-def: $vgpr48_vgpr49
	s_and_saveexec_b64 s[2:3], s[6:7]
	s_cbranch_execz .LBB0_5
; %bb.4:
	ds_read_b128 v[32:35], v180 offset:7040
	ds_read_b128 v[48:51], v180 offset:14960
.LBB0_5:
	s_or_b64 exec, exec, s[2:3]
	s_mov_b64 s[2:3], 0x6e
	v_lshl_add_u64 v[80:81], v[130:131], 0, s[2:3]
	s_mov_b64 s[2:3], 0xdc
	v_lshl_add_u64 v[72:73], v[130:131], 0, s[2:3]
	s_mov_b64 s[2:3], 0x1b8
	s_waitcnt lgkmcnt(0)
	v_add_f64 v[24:25], v[36:37], -v[40:41]
	v_lshlrev_b32_e32 v73, 5, v130
	v_lshl_add_u64 v[74:75], v[130:131], 0, s[2:3]
	v_add_f64 v[0:1], v[64:65], -v[68:69]
	v_add_f64 v[2:3], v[66:67], -v[70:71]
	;; [unrolled: 1-line block ×6, first 2 shown]
	v_fma_f64 v[28:29], v[36:37], 2.0, -v[24:25]
	v_lshlrev_b16_e32 v36, 1, v130
	v_fma_f64 v[4:5], v[64:65], 2.0, -v[0:1]
	v_fma_f64 v[6:7], v[66:67], 2.0, -v[2:3]
	;; [unrolled: 1-line block ×6, first 2 shown]
	v_add_f64 v[26:27], v[38:39], -v[42:43]
	v_add_f64 v[92:93], v[32:33], -v[48:49]
	;; [unrolled: 1-line block ×3, first 2 shown]
	v_lshlrev_b32_e32 v132, 4, v36
	v_lshlrev_b32_e32 v133, 5, v80
	;; [unrolled: 1-line block ×3, first 2 shown]
	v_accvgpr_write_b32 a43, v73
	v_lshlrev_b32_e32 v131, 5, v74
	v_fma_f64 v[30:31], v[38:39], 2.0, -v[26:27]
	s_barrier
	ds_write_b128 v132, v[4:7]
	ds_write_b128 v132, v[0:3] offset:16
	ds_write_b128 v133, v[12:15]
	ds_write_b128 v133, v[8:11] offset:16
	;; [unrolled: 2-line block ×3, first 2 shown]
	ds_write_b128 v73, v[28:31] offset:10560
	ds_write_b128 v73, v[24:27] offset:10576
	s_and_saveexec_b64 s[2:3], s[6:7]
	s_cbranch_execz .LBB0_7
; %bb.6:
	v_fma_f64 v[2:3], v[34:35], 2.0, -v[94:95]
	v_fma_f64 v[0:1], v[32:33], 2.0, -v[92:93]
	ds_write_b128 v131, v[0:3]
	ds_write_b128 v131, v[92:95] offset:16
.LBB0_7:
	s_or_b64 exec, exec, s[2:3]
	v_and_b32_e32 v73, 1, v130
	v_lshlrev_b32_e32 v0, 5, v73
	s_waitcnt lgkmcnt(0)
	s_barrier
	global_load_dwordx4 v[36:39], v0, s[0:1]
	global_load_dwordx4 v[32:35], v0, s[0:1] offset:16
	ds_read_b128 v[0:3], v180
	ds_read_b128 v[4:7], v180 offset:1760
	ds_read_b128 v[8:11], v180 offset:10560
	;; [unrolled: 1-line block ×8, first 2 shown]
	s_mov_b32 s2, 0xe8584caa
	s_mov_b32 s3, 0x3febb67a
	;; [unrolled: 1-line block ×4, first 2 shown]
	s_waitcnt lgkmcnt(0)
	s_barrier
	s_movk_i32 s16, 0xab
	s_waitcnt vmcnt(1)
	v_mul_f64 v[52:53], v[22:23], v[38:39]
	s_waitcnt vmcnt(0)
	v_mul_f64 v[50:51], v[8:9], v[34:35]
	v_mul_f64 v[56:57], v[14:15], v[34:35]
	;; [unrolled: 1-line block ×5, first 2 shown]
	v_fmac_f64_e32 v[50:51], v[10:11], v[32:33]
	v_fma_f64 v[10:11], v[20:21], v[36:37], -v[52:53]
	v_fma_f64 v[12:13], v[12:13], v[32:33], -v[56:57]
	v_mul_f64 v[46:47], v[16:17], v[38:39]
	v_mul_f64 v[54:55], v[20:21], v[38:39]
	;; [unrolled: 1-line block ×3, first 2 shown]
	v_fma_f64 v[16:17], v[16:17], v[36:37], -v[44:45]
	v_fma_f64 v[8:9], v[8:9], v[32:33], -v[48:49]
	v_add_f64 v[44:45], v[10:11], v[12:13]
	v_mul_f64 v[64:65], v[30:31], v[34:35]
	v_fmac_f64_e32 v[46:47], v[18:19], v[36:37]
	v_fmac_f64_e32 v[54:55], v[22:23], v[36:37]
	;; [unrolled: 1-line block ×3, first 2 shown]
	v_add_f64 v[20:21], v[0:1], v[16:17]
	v_add_f64 v[22:23], v[16:17], v[8:9]
	v_add_f64 v[30:31], v[16:17], -v[8:9]
	v_add_f64 v[16:17], v[4:5], v[10:11]
	v_fmac_f64_e32 v[4:5], -0.5, v[44:45]
	v_lshrrev_b32_e32 v44, 1, v130
	v_mul_f64 v[60:61], v[26:27], v[38:39]
	v_mul_f64 v[62:63], v[24:25], v[38:39]
	v_fma_f64 v[18:19], v[28:29], v[32:33], -v[64:65]
	v_add_f64 v[28:29], v[46:47], v[50:51]
	v_mul_u32_u24_e32 v44, 6, v44
	v_fmac_f64_e32 v[58:59], v[14:15], v[32:33]
	v_fma_f64 v[14:15], v[24:25], v[36:37], -v[60:61]
	v_fmac_f64_e32 v[62:63], v[26:27], v[36:37]
	v_add_f64 v[24:25], v[46:47], -v[50:51]
	v_add_f64 v[26:27], v[2:3], v[46:47]
	v_fmac_f64_e32 v[0:1], -0.5, v[22:23]
	v_fmac_f64_e32 v[2:3], -0.5, v[28:29]
	v_or_b32_e32 v44, v44, v73
	v_add_f64 v[46:47], v[54:55], -v[58:59]
	v_add_f64 v[48:49], v[6:7], v[54:55]
	v_add_f64 v[52:53], v[54:55], v[58:59]
	v_add_f64 v[54:55], v[10:11], -v[12:13]
	v_add_f64 v[8:9], v[20:21], v[8:9]
	v_add_f64 v[10:11], v[26:27], v[50:51]
	v_fma_f64 v[20:21], s[2:3], v[24:25], v[0:1]
	v_fmac_f64_e32 v[0:1], s[4:5], v[24:25]
	v_fma_f64 v[22:23], s[4:5], v[30:31], v[2:3]
	v_fmac_f64_e32 v[2:3], s[2:3], v[30:31]
	v_lshlrev_b32_e32 v44, 4, v44
	ds_write_b128 v44, v[8:11]
	ds_write_b128 v44, v[20:23] offset:32
	ds_write_b128 v44, v[0:3] offset:64
	v_lshrrev_b32_e32 v0, 1, v80
	v_mul_u32_u24_e32 v0, 6, v0
	v_fmac_f64_e32 v[6:7], -0.5, v[52:53]
	v_or_b32_e32 v0, v0, v73
	v_add_f64 v[56:57], v[40:41], v[14:15]
	v_add_f64 v[60:61], v[14:15], v[18:19]
	v_add_f64 v[70:71], v[14:15], -v[18:19]
	v_add_f64 v[12:13], v[16:17], v[12:13]
	v_add_f64 v[14:15], v[48:49], v[58:59]
	v_fma_f64 v[24:25], s[2:3], v[46:47], v[4:5]
	v_fmac_f64_e32 v[4:5], s[4:5], v[46:47]
	v_fma_f64 v[26:27], s[4:5], v[54:55], v[6:7]
	v_fmac_f64_e32 v[6:7], s[2:3], v[54:55]
	v_lshlrev_b32_e32 v0, 4, v0
	ds_write_b128 v0, v[12:15]
	ds_write_b128 v0, v[24:27] offset:32
	v_accvgpr_write_b32 a41, v0
	ds_write_b128 v0, v[4:7] offset:64
	v_lshrrev_b32_e32 v0, 1, v72
	v_add_f64 v[64:65], v[62:63], -v[66:67]
	v_add_f64 v[68:69], v[42:43], v[62:63]
	v_add_f64 v[62:63], v[62:63], v[66:67]
	v_mul_u32_u24_e32 v0, 6, v0
	v_fmac_f64_e32 v[40:41], -0.5, v[60:61]
	v_fmac_f64_e32 v[42:43], -0.5, v[62:63]
	v_or_b32_e32 v0, v0, v73
	v_add_f64 v[16:17], v[56:57], v[18:19]
	v_add_f64 v[18:19], v[68:69], v[66:67]
	v_fma_f64 v[28:29], s[2:3], v[64:65], v[40:41]
	v_fmac_f64_e32 v[40:41], s[4:5], v[64:65]
	v_fma_f64 v[30:31], s[4:5], v[70:71], v[42:43]
	v_fmac_f64_e32 v[42:43], s[2:3], v[70:71]
	v_lshlrev_b32_e32 v0, 4, v0
	ds_write_b128 v0, v[16:19]
	ds_write_b128 v0, v[28:31] offset:32
	v_accvgpr_write_b32 a42, v0
	ds_write_b128 v0, v[40:43] offset:64
	v_mul_lo_u16_sdwa v0, v130, s16 dst_sel:DWORD dst_unused:UNUSED_PAD src0_sel:BYTE_0 src1_sel:DWORD
	v_lshrrev_b16_e32 v81, 10, v0
	v_mul_lo_u16_e32 v0, 6, v81
	v_sub_u16_e32 v0, v130, v0
	v_and_b32_e32 v82, 0xff, v0
	v_lshlrev_b32_e32 v0, 5, v82
	v_accvgpr_write_b32 a40, v44
	s_waitcnt lgkmcnt(0)
	s_barrier
	global_load_dwordx4 v[40:43], v0, s[0:1] offset:80
	global_load_dwordx4 v[44:47], v0, s[0:1] offset:64
	v_mul_lo_u16_sdwa v0, v80, s16 dst_sel:DWORD dst_unused:UNUSED_PAD src0_sel:BYTE_0 src1_sel:DWORD
	v_lshrrev_b16_e32 v83, 10, v0
	v_mul_lo_u16_e32 v0, 6, v83
	v_sub_u16_e32 v0, v80, v0
	v_and_b32_e32 v84, 0xff, v0
	v_lshlrev_b32_e32 v0, 5, v84
	s_mov_b32 s16, 0xaaab
	global_load_dwordx4 v[48:51], v0, s[0:1] offset:80
	global_load_dwordx4 v[52:55], v0, s[0:1] offset:64
	v_mul_u32_u24_sdwa v0, v72, s16 dst_sel:DWORD dst_unused:UNUSED_PAD src0_sel:WORD_0 src1_sel:DWORD
	v_lshrrev_b32_e32 v85, 18, v0
	v_mul_lo_u16_e32 v0, 6, v85
	v_sub_u16_e32 v86, v72, v0
	v_lshlrev_b16_e32 v0, 5, v86
	v_mov_b32_e32 v1, 0
	v_lshl_add_u64 v[0:1], s[0:1], 0, v[0:1]
	global_load_dwordx4 v[60:63], v[0:1], off offset:64
	global_load_dwordx4 v[56:59], v[0:1], off offset:80
	ds_read_b128 v[0:3], v180
	ds_read_b128 v[136:139], v180 offset:1760
	ds_read_b128 v[4:7], v180 offset:10560
	;; [unrolled: 1-line block ×8, first 2 shown]
	s_waitcnt lgkmcnt(0)
	s_barrier
	s_waitcnt vmcnt(5)
	v_mul_f64 v[64:65], v[6:7], v[42:43]
	s_waitcnt vmcnt(4)
	v_mul_f64 v[28:29], v[14:15], v[46:47]
	v_mul_f64 v[30:31], v[12:13], v[46:47]
	;; [unrolled: 1-line block ×3, first 2 shown]
	v_fma_f64 v[12:13], v[12:13], v[44:45], -v[28:29]
	v_fmac_f64_e32 v[30:31], v[14:15], v[44:45]
	v_fma_f64 v[14:15], v[4:5], v[40:41], -v[64:65]
	v_fmac_f64_e32 v[66:67], v[6:7], v[40:41]
	s_waitcnt vmcnt(3)
	v_mul_f64 v[72:73], v[10:11], v[50:51]
	v_mul_f64 v[74:75], v[8:9], v[50:51]
	v_fma_f64 v[64:65], v[8:9], v[48:49], -v[72:73]
	v_add_f64 v[6:7], v[0:1], v[12:13]
	v_add_f64 v[8:9], v[30:31], -v[66:67]
	s_waitcnt vmcnt(2)
	v_mul_f64 v[68:69], v[18:19], v[54:55]
	v_fmac_f64_e32 v[74:75], v[10:11], v[48:49]
	v_mul_f64 v[70:71], v[16:17], v[54:55]
	s_waitcnt vmcnt(1)
	v_mul_f64 v[78:79], v[20:21], v[62:63]
	s_waitcnt vmcnt(0)
	v_mul_f64 v[4:5], v[26:27], v[58:59]
	v_mul_f64 v[76:77], v[22:23], v[62:63]
	v_fmac_f64_e32 v[78:79], v[22:23], v[60:61]
	v_fma_f64 v[22:23], v[24:25], v[56:57], -v[4:5]
	v_add_f64 v[4:5], v[12:13], v[14:15]
	v_fmac_f64_e32 v[0:1], -0.5, v[4:5]
	v_fma_f64 v[4:5], s[2:3], v[8:9], v[0:1]
	v_fmac_f64_e32 v[0:1], s[4:5], v[8:9]
	v_add_f64 v[8:9], v[6:7], v[14:15]
	v_add_f64 v[6:7], v[2:3], v[30:31]
	v_add_f64 v[10:11], v[6:7], v[66:67]
	v_add_f64 v[6:7], v[30:31], v[66:67]
	v_fma_f64 v[28:29], v[16:17], v[52:53], -v[68:69]
	v_fmac_f64_e32 v[2:3], -0.5, v[6:7]
	v_add_f64 v[12:13], v[12:13], -v[14:15]
	v_fmac_f64_e32 v[70:71], v[18:19], v[52:53]
	v_fma_f64 v[6:7], s[4:5], v[12:13], v[2:3]
	v_fmac_f64_e32 v[2:3], s[2:3], v[12:13]
	v_add_f64 v[12:13], v[28:29], v[64:65]
	v_add_f64 v[14:15], v[136:137], v[28:29]
	v_fmac_f64_e32 v[136:137], -0.5, v[12:13]
	v_add_f64 v[16:17], v[70:71], -v[74:75]
	v_fma_f64 v[12:13], s[2:3], v[16:17], v[136:137]
	v_fmac_f64_e32 v[136:137], s[4:5], v[16:17]
	v_add_f64 v[16:17], v[14:15], v[64:65]
	v_add_f64 v[14:15], v[138:139], v[70:71]
	v_mul_f64 v[24:25], v[24:25], v[58:59]
	v_add_f64 v[18:19], v[14:15], v[74:75]
	v_add_f64 v[14:15], v[70:71], v[74:75]
	v_fma_f64 v[20:21], v[20:21], v[60:61], -v[76:77]
	v_fmac_f64_e32 v[24:25], v[26:27], v[56:57]
	v_fmac_f64_e32 v[138:139], -0.5, v[14:15]
	v_add_f64 v[26:27], v[28:29], -v[64:65]
	v_fma_f64 v[14:15], s[4:5], v[26:27], v[138:139]
	v_fmac_f64_e32 v[138:139], s[2:3], v[26:27]
	v_add_f64 v[26:27], v[100:101], v[20:21]
	v_add_f64 v[28:29], v[20:21], v[22:23]
	;; [unrolled: 1-line block ×4, first 2 shown]
	v_fmac_f64_e32 v[100:101], -0.5, v[28:29]
	v_add_f64 v[28:29], v[78:79], -v[24:25]
	v_add_f64 v[106:107], v[26:27], v[24:25]
	v_add_f64 v[24:25], v[78:79], v[24:25]
	v_fmac_f64_e32 v[102:103], -0.5, v[24:25]
	v_add_f64 v[20:21], v[20:21], -v[22:23]
	v_fma_f64 v[110:111], s[4:5], v[20:21], v[102:103]
	v_fmac_f64_e32 v[102:103], s[2:3], v[20:21]
	v_mul_u32_u24_e32 v20, 18, v81
	v_add_lshl_u32 v20, v20, v82, 4
	ds_write_b128 v20, v[8:11]
	ds_write_b128 v20, v[4:7] offset:96
	ds_write_b128 v20, v[0:3] offset:192
	v_mul_u32_u24_e32 v0, 18, v83
	v_add_lshl_u32 v0, v0, v84, 4
	ds_write_b128 v0, v[16:19]
	ds_write_b128 v0, v[12:15] offset:96
	v_accvgpr_write_b32 a45, v0
	ds_write_b128 v0, v[136:139] offset:192
	v_mad_legacy_u16 v0, v85, 18, v86
	v_fma_f64 v[108:109], s[2:3], v[28:29], v[100:101]
	v_fmac_f64_e32 v[100:101], s[4:5], v[28:29]
	v_lshlrev_b32_e32 v0, 4, v0
	ds_write_b128 v0, v[104:107]
	ds_write_b128 v0, v[108:111] offset:96
	ds_write_b128 v0, v[100:103] offset:192
	s_waitcnt lgkmcnt(0)
	s_barrier
	ds_read_b128 v[144:147], v180
	ds_read_b128 v[124:127], v180 offset:3168
	ds_read_b128 v[120:123], v180 offset:6336
	ds_read_b128 v[116:119], v180 offset:9504
	ds_read_b128 v[112:115], v180 offset:12672
	s_movk_i32 s2, 0x58
	v_accvgpr_write_b32 a44, v20
	v_accvgpr_write_b32 a46, v0
	v_cmp_gt_u16_e64 s[2:3], s2, v130
	s_and_saveexec_b64 s[4:5], s[2:3]
	s_cbranch_execz .LBB0_9
; %bb.8:
	ds_read_b128 v[136:139], v180 offset:1760
	ds_read_b128 v[104:107], v180 offset:4928
	;; [unrolled: 1-line block ×5, first 2 shown]
.LBB0_9:
	s_or_b64 exec, exec, s[4:5]
	v_mov_b32_e32 v0, 57
	v_mul_lo_u16_sdwa v1, v130, v0 dst_sel:DWORD dst_unused:UNUSED_PAD src0_sel:BYTE_0 src1_sel:DWORD
	v_mul_lo_u16_sdwa v0, v80, v0 dst_sel:DWORD dst_unused:UNUSED_PAD src0_sel:BYTE_0 src1_sel:DWORD
	v_lshrrev_b16_e32 v128, 10, v1
	v_lshrrev_b16_e32 v135, 10, v0
	v_mul_lo_u16_e32 v1, 18, v128
	v_mul_lo_u16_e32 v0, 18, v135
	v_sub_u16_e32 v1, v130, v1
	v_sub_u16_e32 v0, v80, v0
	v_and_b32_e32 v129, 0xff, v1
	v_and_b32_e32 v0, 0xff, v0
	v_lshlrev_b32_e32 v1, 6, v129
	v_accvgpr_write_b32 a39, v0
	v_lshlrev_b32_e32 v0, 6, v0
	global_load_dwordx4 v[68:71], v1, s[0:1] offset:272
	global_load_dwordx4 v[76:79], v1, s[0:1] offset:256
	;; [unrolled: 1-line block ×8, first 2 shown]
	s_mov_b32 s16, 0x134454ff
	s_mov_b32 s17, 0x3fee6f0e
	;; [unrolled: 1-line block ×10, first 2 shown]
	s_waitcnt lgkmcnt(0)
	s_barrier
	s_waitcnt vmcnt(7)
	v_mul_f64 v[4:5], v[122:123], v[70:71]
	s_waitcnt vmcnt(6)
	v_mul_f64 v[0:1], v[126:127], v[78:79]
	v_fma_f64 v[0:1], v[124:125], v[76:77], -v[0:1]
	s_waitcnt vmcnt(4)
	v_mul_f64 v[8:9], v[118:119], v[74:75]
	s_waitcnt vmcnt(0)
	v_mul_f64 v[28:29], v[94:95], v[82:83]
	v_mul_f64 v[30:31], v[92:93], v[82:83]
	v_fma_f64 v[4:5], v[120:121], v[68:69], -v[4:5]
	v_fma_f64 v[28:29], v[92:93], v[80:81], -v[28:29]
	v_add_f64 v[92:93], v[144:145], v[0:1]
	v_mul_f64 v[6:7], v[120:121], v[70:71]
	v_mul_f64 v[10:11], v[116:117], v[74:75]
	;; [unrolled: 1-line block ×3, first 2 shown]
	v_fma_f64 v[8:9], v[116:117], v[72:73], -v[8:9]
	v_add_f64 v[92:93], v[92:93], v[4:5]
	v_fmac_f64_e32 v[6:7], v[122:123], v[68:69]
	v_fmac_f64_e32 v[10:11], v[118:119], v[72:73]
	v_fma_f64 v[12:13], v[112:113], v[64:65], -v[12:13]
	v_add_f64 v[92:93], v[92:93], v[8:9]
	v_mul_f64 v[2:3], v[124:125], v[78:79]
	v_mul_f64 v[14:15], v[112:113], v[66:67]
	;; [unrolled: 1-line block ×5, first 2 shown]
	v_add_f64 v[140:141], v[92:93], v[12:13]
	v_add_f64 v[92:93], v[6:7], v[10:11]
	v_mul_f64 v[18:19], v[104:105], v[98:99]
	v_fmac_f64_e32 v[2:3], v[126:127], v[76:77]
	v_fmac_f64_e32 v[14:15], v[114:115], v[64:65]
	v_fma_f64 v[16:17], v[104:105], v[96:97], -v[16:17]
	v_fma_f64 v[20:21], v[108:109], v[88:89], -v[20:21]
	v_fmac_f64_e32 v[22:23], v[110:111], v[88:89]
	v_add_f64 v[104:105], v[0:1], -v[4:5]
	v_add_f64 v[108:109], v[0:1], v[12:13]
	v_add_f64 v[110:111], v[4:5], -v[0:1]
	v_fma_f64 v[158:159], -0.5, v[92:93], v[146:147]
	v_add_f64 v[0:1], v[0:1], -v[12:13]
	v_fmac_f64_e32 v[18:19], v[106:107], v[96:97]
	v_fmac_f64_e32 v[30:31], v[94:95], v[80:81]
	v_add_f64 v[94:95], v[4:5], v[8:9]
	v_add_f64 v[106:107], v[12:13], -v[8:9]
	v_add_f64 v[112:113], v[8:9], -v[12:13]
	v_fma_f64 v[150:151], s[20:21], v[0:1], v[158:159]
	v_add_f64 v[4:5], v[4:5], -v[8:9]
	v_add_f64 v[8:9], v[2:3], -v[6:7]
	;; [unrolled: 1-line block ×3, first 2 shown]
	v_fmac_f64_e32 v[158:159], s[16:17], v[0:1]
	v_fmac_f64_e32 v[150:151], s[22:23], v[4:5]
	v_add_f64 v[8:9], v[8:9], v[12:13]
	v_fmac_f64_e32 v[158:159], s[4:5], v[4:5]
	v_fmac_f64_e32 v[150:151], s[18:19], v[8:9]
	v_fmac_f64_e32 v[158:159], s[18:19], v[8:9]
	v_add_f64 v[8:9], v[2:3], v[14:15]
	v_add_f64 v[114:115], v[146:147], v[2:3]
	v_fmac_f64_e32 v[146:147], -0.5, v[8:9]
	v_fma_f64 v[154:155], s[16:17], v[4:5], v[146:147]
	v_fmac_f64_e32 v[146:147], s[20:21], v[4:5]
	v_mul_f64 v[24:25], v[102:103], v[86:87]
	v_fmac_f64_e32 v[154:155], s[22:23], v[0:1]
	v_fmac_f64_e32 v[146:147], s[4:5], v[0:1]
	v_add_f64 v[0:1], v[136:137], v[16:17]
	v_fma_f64 v[24:25], v[100:101], v[84:85], -v[24:25]
	v_add_f64 v[0:1], v[0:1], v[20:21]
	v_mul_f64 v[26:27], v[100:101], v[86:87]
	v_add_f64 v[0:1], v[0:1], v[24:25]
	v_fmac_f64_e32 v[26:27], v[102:103], v[84:85]
	v_add_f64 v[100:101], v[2:3], -v[14:15]
	v_add_f64 v[102:103], v[6:7], -v[10:11]
	v_fma_f64 v[156:157], -0.5, v[94:95], v[144:145]
	v_add_f64 v[94:95], v[104:105], v[106:107]
	v_add_f64 v[106:107], v[114:115], v[6:7]
	v_add_f64 v[2:3], v[6:7], -v[2:3]
	v_add_f64 v[6:7], v[10:11], -v[14:15]
	v_add_f64 v[160:161], v[0:1], v[28:29]
	v_add_f64 v[0:1], v[20:21], v[24:25]
	;; [unrolled: 1-line block ×3, first 2 shown]
	v_fma_f64 v[168:169], -0.5, v[0:1], v[136:137]
	v_add_f64 v[0:1], v[18:19], -v[30:31]
	v_fmac_f64_e32 v[154:155], s[18:19], v[2:3]
	v_fmac_f64_e32 v[146:147], s[18:19], v[2:3]
	v_fma_f64 v[164:165], s[16:17], v[0:1], v[168:169]
	v_add_f64 v[2:3], v[22:23], -v[26:27]
	v_add_f64 v[4:5], v[16:17], -v[20:21]
	v_add_f64 v[6:7], v[28:29], -v[24:25]
	v_fmac_f64_e32 v[168:169], s[20:21], v[0:1]
	v_fmac_f64_e32 v[164:165], s[4:5], v[2:3]
	v_add_f64 v[4:5], v[4:5], v[6:7]
	v_fmac_f64_e32 v[168:169], s[22:23], v[2:3]
	v_fmac_f64_e32 v[164:165], s[18:19], v[4:5]
	;; [unrolled: 1-line block ×3, first 2 shown]
	v_add_f64 v[4:5], v[16:17], v[28:29]
	v_fmac_f64_e32 v[136:137], -0.5, v[4:5]
	v_fma_f64 v[172:173], s[20:21], v[2:3], v[136:137]
	v_fmac_f64_e32 v[136:137], s[16:17], v[2:3]
	v_fmac_f64_e32 v[172:173], s[4:5], v[0:1]
	;; [unrolled: 1-line block ×3, first 2 shown]
	v_add_f64 v[0:1], v[138:139], v[18:19]
	v_add_f64 v[0:1], v[0:1], v[22:23]
	v_add_f64 v[0:1], v[0:1], v[26:27]
	v_add_f64 v[4:5], v[20:21], -v[16:17]
	v_add_f64 v[6:7], v[24:25], -v[28:29]
	v_add_f64 v[162:163], v[0:1], v[30:31]
	v_add_f64 v[0:1], v[22:23], v[26:27]
	;; [unrolled: 1-line block ×3, first 2 shown]
	v_fma_f64 v[170:171], -0.5, v[0:1], v[138:139]
	v_add_f64 v[0:1], v[16:17], -v[28:29]
	v_fmac_f64_e32 v[172:173], s[18:19], v[4:5]
	v_fmac_f64_e32 v[136:137], s[18:19], v[4:5]
	v_fma_f64 v[166:167], s[20:21], v[0:1], v[170:171]
	v_add_f64 v[2:3], v[20:21], -v[24:25]
	v_add_f64 v[4:5], v[18:19], -v[22:23]
	;; [unrolled: 1-line block ×3, first 2 shown]
	v_fmac_f64_e32 v[170:171], s[16:17], v[0:1]
	v_fmac_f64_e32 v[166:167], s[22:23], v[2:3]
	v_add_f64 v[4:5], v[4:5], v[6:7]
	v_fmac_f64_e32 v[170:171], s[4:5], v[2:3]
	v_fmac_f64_e32 v[166:167], s[18:19], v[4:5]
	v_fmac_f64_e32 v[170:171], s[18:19], v[4:5]
	v_add_f64 v[4:5], v[18:19], v[30:31]
	v_fmac_f64_e32 v[144:145], -0.5, v[108:109]
	v_fmac_f64_e32 v[138:139], -0.5, v[4:5]
	v_fma_f64 v[148:149], s[16:17], v[100:101], v[156:157]
	v_fmac_f64_e32 v[156:157], s[20:21], v[100:101]
	v_fma_f64 v[152:153], s[20:21], v[102:103], v[144:145]
	v_fmac_f64_e32 v[144:145], s[16:17], v[102:103]
	v_fma_f64 v[174:175], s[16:17], v[2:3], v[138:139]
	v_add_f64 v[4:5], v[22:23], -v[18:19]
	v_add_f64 v[6:7], v[26:27], -v[30:31]
	v_fmac_f64_e32 v[138:139], s[20:21], v[2:3]
	v_add_f64 v[104:105], v[110:111], v[112:113]
	v_add_f64 v[106:107], v[106:107], v[10:11]
	v_fmac_f64_e32 v[148:149], s[4:5], v[102:103]
	v_fmac_f64_e32 v[156:157], s[22:23], v[102:103]
	;; [unrolled: 1-line block ×5, first 2 shown]
	v_add_f64 v[4:5], v[4:5], v[6:7]
	v_fmac_f64_e32 v[138:139], s[4:5], v[0:1]
	v_mul_u32_u24_e32 v0, 0x5a, v128
	v_fmac_f64_e32 v[148:149], s[18:19], v[94:95]
	v_fmac_f64_e32 v[156:157], s[18:19], v[94:95]
	;; [unrolled: 1-line block ×4, first 2 shown]
	v_add_f64 v[142:143], v[106:107], v[14:15]
	v_fmac_f64_e32 v[174:175], s[18:19], v[4:5]
	v_fmac_f64_e32 v[138:139], s[18:19], v[4:5]
	s_movk_i32 s16, 0x5a
	v_add_lshl_u32 v181, v0, v129, 4
	ds_write_b128 v181, v[140:143]
	ds_write_b128 v181, v[148:151] offset:288
	ds_write_b128 v181, v[152:155] offset:576
	;; [unrolled: 1-line block ×4, first 2 shown]
	s_and_saveexec_b64 s[4:5], s[2:3]
	s_cbranch_execz .LBB0_11
; %bb.10:
	v_mul_u32_u24_e32 v0, 0x5a, v135
	v_accvgpr_read_b32 v1, a39
	v_add_lshl_u32 v0, v0, v1, 4
	ds_write_b128 v0, v[160:163]
	ds_write_b128 v0, v[164:167] offset:288
	ds_write_b128 v0, v[172:175] offset:576
	;; [unrolled: 1-line block ×4, first 2 shown]
.LBB0_11:
	s_or_b64 exec, exec, s[4:5]
	v_cmp_gt_u16_e64 s[4:5], s16, v130
	s_waitcnt lgkmcnt(0)
	s_barrier
	s_waitcnt lgkmcnt(0)
                                        ; implicit-def: $vgpr176_vgpr177
	s_and_saveexec_b64 s[16:17], s[4:5]
	s_cbranch_execz .LBB0_13
; %bb.12:
	ds_read_b128 v[140:143], v180
	ds_read_b128 v[148:151], v180 offset:1440
	ds_read_b128 v[152:155], v180 offset:2880
	;; [unrolled: 1-line block ×10, first 2 shown]
.LBB0_13:
	s_or_b64 exec, exec, s[16:17]
	v_add_u32_e32 v0, 0xffffffa6, v130
	v_cndmask_b32_e64 v0, v0, v130, s[4:5]
	v_mul_hi_i32_i24_e32 v1, 0xa0, v0
	v_mul_i32_i24_e32 v0, 0xa0, v0
	v_lshl_add_u64 v[0:1], s[0:1], 0, v[0:1]
	global_load_dwordx4 v[20:23], v[0:1], off offset:1408
	global_load_dwordx4 v[24:27], v[0:1], off offset:1424
	;; [unrolled: 1-line block ×10, first 2 shown]
	s_mov_b32 s16, 0xf8bb580b
	s_mov_b32 s24, 0x8eee2c13
	;; [unrolled: 1-line block ×28, first 2 shown]
	s_waitcnt vmcnt(9) lgkmcnt(9)
	v_mul_f64 v[0:1], v[150:151], v[22:23]
	v_mul_f64 v[188:189], v[148:149], v[22:23]
	s_waitcnt vmcnt(8) lgkmcnt(8)
	v_mul_f64 v[190:191], v[152:153], v[26:27]
	v_fma_f64 v[202:203], v[148:149], v[20:21], -v[0:1]
	v_fmac_f64_e32 v[188:189], v[150:151], v[20:21]
	s_waitcnt vmcnt(4) lgkmcnt(4)
	v_mul_f64 v[198:199], v[164:165], v[118:119]
	v_mul_f64 v[10:11], v[166:167], v[118:119]
	v_fmac_f64_e32 v[198:199], v[166:167], v[116:117]
	s_waitcnt vmcnt(1) lgkmcnt(1)
	v_mul_f64 v[16:17], v[170:171], v[110:111]
	s_waitcnt vmcnt(0) lgkmcnt(0)
	v_mul_f64 v[18:19], v[178:179], v[102:103]
	v_mul_f64 v[208:209], v[176:177], v[102:103]
	;; [unrolled: 1-line block ×3, first 2 shown]
	v_fma_f64 v[166:167], v[168:169], v[108:109], -v[16:17]
	v_fma_f64 v[168:169], v[176:177], v[100:101], -v[18:19]
	v_fmac_f64_e32 v[208:209], v[178:179], v[100:101]
	v_mul_f64 v[2:3], v[154:155], v[26:27]
	v_fmac_f64_e32 v[190:191], v[154:155], v[24:25]
	v_fmac_f64_e32 v[206:207], v[170:171], v[108:109]
	v_add_f64 v[222:223], v[202:203], -v[168:169]
	v_add_f64 v[230:231], v[188:189], -v[208:209]
	v_mul_f64 v[6:7], v[158:159], v[94:95]
	v_mul_f64 v[196:197], v[160:161], v[122:123]
	v_mul_f64 v[12:13], v[174:175], v[114:115]
	v_mul_f64 v[200:201], v[172:173], v[114:115]
	v_fma_f64 v[152:153], v[152:153], v[24:25], -v[2:3]
	v_add_f64 v[214:215], v[202:203], v[168:169]
	v_add_f64 v[236:237], v[188:189], v[208:209]
	v_mul_f64 v[170:171], v[230:231], s[16:17]
	v_mul_f64 v[210:211], v[222:223], s[24:25]
	v_add_f64 v[250:251], v[190:191], -v[206:207]
	v_mul_f64 v[194:195], v[156:157], v[94:95]
	v_mul_f64 v[8:9], v[162:163], v[122:123]
	;; [unrolled: 1-line block ×3, first 2 shown]
	v_fma_f64 v[156:157], v[156:157], v[92:93], -v[6:7]
	v_fmac_f64_e32 v[196:197], v[162:163], v[120:121]
	v_fma_f64 v[162:163], v[172:173], v[112:113], -v[12:13]
	v_fmac_f64_e32 v[200:201], v[174:175], v[112:113]
	v_add_f64 v[224:225], v[152:153], v[166:167]
	v_mul_f64 v[172:173], v[222:223], s[16:17]
	v_fma_f64 v[0:1], s[0:1], v[214:215], v[170:171]
	v_fma_f64 v[6:7], v[236:237], s[18:19], -v[210:211]
	v_add_f64 v[242:243], v[152:153], -v[166:167]
	v_mul_f64 v[174:175], v[250:251], s[24:25]
	v_mul_f64 v[4:5], v[146:147], v[30:31]
	v_fmac_f64_e32 v[194:195], v[158:159], v[92:93]
	v_fma_f64 v[158:159], v[160:161], v[120:121], -v[8:9]
	v_fma_f64 v[160:161], v[164:165], v[116:117], -v[10:11]
	;; [unrolled: 1-line block ×3, first 2 shown]
	v_mul_f64 v[176:177], v[230:231], s[24:25]
	v_fma_f64 v[2:3], v[236:237], s[0:1], -v[172:173]
	v_add_f64 v[0:1], v[140:141], v[0:1]
	v_add_f64 v[12:13], v[142:143], v[6:7]
	;; [unrolled: 1-line block ×3, first 2 shown]
	v_mul_f64 v[178:179], v[242:243], s[24:25]
	v_fma_f64 v[14:15], s[18:19], v[224:225], v[174:175]
	v_fma_f64 v[154:155], v[144:145], v[28:29], -v[4:5]
	v_fma_f64 v[4:5], s[18:19], v[214:215], v[176:177]
	v_add_f64 v[2:3], v[142:143], v[2:3]
	v_add_f64 v[14:15], v[14:15], v[0:1]
	v_fma_f64 v[0:1], v[6:7], s[18:19], -v[178:179]
	v_mul_f64 v[216:217], v[250:251], s[30:31]
	v_mul_f64 v[212:213], v[230:231], s[26:27]
	v_add_f64 v[4:5], v[140:141], v[4:5]
	v_add_f64 v[2:3], v[0:1], v[2:3]
	v_mul_f64 v[226:227], v[242:243], s[30:31]
	v_fma_f64 v[0:1], s[28:29], v[224:225], v[216:217]
	v_mul_f64 v[192:193], v[144:145], v[30:31]
	v_mul_f64 v[204:205], v[136:137], v[106:107]
	;; [unrolled: 1-line block ×3, first 2 shown]
	v_fma_f64 v[8:9], s[20:21], v[214:215], v[212:213]
	v_add_f64 v[4:5], v[0:1], v[4:5]
	v_fma_f64 v[0:1], v[6:7], s[28:29], -v[226:227]
	v_mul_f64 v[238:239], v[250:251], s[38:39]
	v_accvgpr_write_b32 a51, v23
	v_fmac_f64_e32 v[192:193], v[146:147], v[28:29]
	v_fmac_f64_e32 v[204:205], v[138:139], v[104:105]
	v_fma_f64 v[10:11], v[236:237], s[20:21], -v[218:219]
	v_add_f64 v[8:9], v[140:141], v[8:9]
	v_add_f64 v[12:13], v[0:1], v[12:13]
	v_mul_f64 v[246:247], v[242:243], s[38:39]
	v_fma_f64 v[0:1], s[34:35], v[224:225], v[238:239]
	v_accvgpr_write_b32 a50, v22
	v_accvgpr_write_b32 a49, v21
	;; [unrolled: 1-line block ×3, first 2 shown]
	v_add_f64 v[10:11], v[142:143], v[10:11]
	v_add_f64 v[16:17], v[0:1], v[8:9]
	v_fma_f64 v[0:1], v[6:7], s[34:35], -v[246:247]
	v_add_f64 v[22:23], v[192:193], -v[204:205]
	v_accvgpr_write_b32 a55, v27
	v_add_f64 v[18:19], v[0:1], v[10:11]
	v_add_f64 v[0:1], v[154:155], v[164:165]
	v_add_f64 v[10:11], v[154:155], -v[164:165]
	v_mul_f64 v[220:221], v[22:23], s[26:27]
	v_accvgpr_write_b32 a54, v26
	v_accvgpr_write_b32 a53, v25
	;; [unrolled: 1-line block ×3, first 2 shown]
	v_add_f64 v[26:27], v[192:193], v[204:205]
	v_mul_f64 v[228:229], v[10:11], s[26:27]
	v_fma_f64 v[8:9], s[20:21], v[0:1], v[220:221]
	v_add_f64 v[14:15], v[8:9], v[14:15]
	v_fma_f64 v[8:9], v[26:27], s[20:21], -v[228:229]
	v_mul_f64 v[234:235], v[22:23], s[38:39]
	v_add_f64 v[2:3], v[8:9], v[2:3]
	v_mul_f64 v[244:245], v[10:11], s[38:39]
	v_fma_f64 v[8:9], s[34:35], v[0:1], v[234:235]
	v_add_f64 v[20:21], v[8:9], v[4:5]
	v_fma_f64 v[4:5], v[26:27], s[34:35], -v[244:245]
	v_mul_f64 v[254:255], v[22:23], s[36:37]
	v_accvgpr_write_b32 a59, v31
	v_add_f64 v[12:13], v[4:5], v[12:13]
	v_mul_f64 v[8:9], v[10:11], s[36:37]
	v_fma_f64 v[4:5], s[18:19], v[0:1], v[254:255]
	v_add_f64 v[182:183], v[194:195], -v[200:201]
	v_accvgpr_write_b32 a58, v30
	v_accvgpr_write_b32 a57, v29
	;; [unrolled: 1-line block ×4, first 2 shown]
	v_add_f64 v[28:29], v[4:5], v[16:17]
	v_fma_f64 v[4:5], v[26:27], s[18:19], -v[8:9]
	v_add_f64 v[16:17], v[156:157], v[162:163]
	v_add_f64 v[24:25], v[156:157], -v[162:163]
	v_mul_f64 v[232:233], v[182:183], s[30:31]
	v_accvgpr_write_b32 a61, v93
	v_accvgpr_write_b32 a62, v94
	;; [unrolled: 1-line block ×4, first 2 shown]
	v_add_f64 v[18:19], v[4:5], v[18:19]
	v_add_f64 v[94:95], v[194:195], v[200:201]
	v_mul_f64 v[240:241], v[24:25], s[30:31]
	v_fma_f64 v[4:5], s[28:29], v[16:17], v[232:233]
	v_accvgpr_write_b32 a69, v105
	v_accvgpr_write_b32 a70, v106
	;; [unrolled: 1-line block ×3, first 2 shown]
	v_add_f64 v[104:105], v[4:5], v[14:15]
	v_fma_f64 v[4:5], v[94:95], s[28:29], -v[240:241]
	v_mul_f64 v[252:253], v[182:183], s[40:41]
	v_accvgpr_write_b32 a72, v108
	v_add_f64 v[106:107], v[4:5], v[2:3]
	v_mul_f64 v[4:5], v[24:25], s[40:41]
	v_fma_f64 v[2:3], s[20:21], v[16:17], v[252:253]
	v_accvgpr_write_b32 a73, v109
	v_accvgpr_write_b32 a74, v110
	;; [unrolled: 1-line block ×4, first 2 shown]
	v_add_f64 v[108:109], v[2:3], v[20:21]
	v_fma_f64 v[2:3], v[94:95], s[20:21], -v[4:5]
	v_mul_f64 v[14:15], v[182:183], s[16:17]
	v_accvgpr_write_b32 a65, v101
	v_accvgpr_write_b32 a66, v102
	;; [unrolled: 1-line block ×3, first 2 shown]
	v_add_f64 v[110:111], v[2:3], v[12:13]
	v_mul_f64 v[20:21], v[24:25], s[16:17]
	v_fma_f64 v[2:3], s[0:1], v[16:17], v[14:15]
	v_add_f64 v[100:101], v[196:197], -v[198:199]
	v_add_f64 v[144:145], v[2:3], v[28:29]
	v_fma_f64 v[2:3], v[94:95], s[0:1], -v[20:21]
	v_add_f64 v[30:31], v[158:159], v[160:161]
	v_add_f64 v[92:93], v[158:159], -v[160:161]
	v_mul_f64 v[248:249], v[100:101], s[42:43]
	v_add_f64 v[146:147], v[2:3], v[18:19]
	v_add_f64 v[102:103], v[196:197], v[198:199]
	v_mul_f64 v[2:3], v[92:93], s[42:43]
	v_fma_f64 v[12:13], s[34:35], v[30:31], v[248:249]
	v_add_f64 v[136:137], v[12:13], v[104:105]
	v_fma_f64 v[12:13], v[102:103], s[34:35], -v[2:3]
	v_add_f64 v[138:139], v[12:13], v[106:107]
	v_mul_f64 v[12:13], v[100:101], s[44:45]
	v_mul_f64 v[18:19], v[92:93], s[44:45]
	v_fma_f64 v[28:29], s[0:1], v[30:31], v[12:13]
	v_add_f64 v[148:149], v[28:29], v[108:109]
	v_fma_f64 v[28:29], v[102:103], s[0:1], -v[18:19]
	v_add_f64 v[150:151], v[28:29], v[110:111]
	v_mul_f64 v[28:29], v[100:101], s[30:31]
	v_mul_f64 v[186:187], v[92:93], s[30:31]
	v_fma_f64 v[104:105], s[28:29], v[30:31], v[28:29]
	v_accvgpr_write_b32 a84, v120
	v_accvgpr_write_b32 a80, v116
	;; [unrolled: 1-line block ×3, first 2 shown]
	v_add_f64 v[144:145], v[104:105], v[144:145]
	v_fma_f64 v[104:105], v[102:103], s[28:29], -v[186:187]
	v_accvgpr_write_b32 a85, v121
	v_accvgpr_write_b32 a86, v122
	;; [unrolled: 1-line block ×9, first 2 shown]
	v_add_f64 v[146:147], v[104:105], v[146:147]
	s_and_saveexec_b64 s[22:23], s[4:5]
	s_cbranch_execz .LBB0_15
; %bb.14:
	v_mul_f64 v[104:105], v[214:215], s[0:1]
	v_accvgpr_write_b32 a92, v104
	v_accvgpr_write_b32 a93, v105
	v_mul_f64 v[104:105], v[236:237], s[0:1]
	v_accvgpr_write_b32 a96, v104
	v_accvgpr_write_b32 a97, v105
	;; [unrolled: 3-line block ×23, first 2 shown]
	v_accvgpr_write_b32 a91, v139
	v_accvgpr_write_b32 a118, v104
	v_mul_f64 v[104:105], v[30:31], s[0:1]
	v_mul_f64 v[122:123], v[6:7], s[0:1]
	v_fma_f64 v[138:139], s[38:39], v[222:223], v[126:127]
	v_accvgpr_write_b32 a129, v105
	v_mul_f64 v[118:119], v[26:27], s[28:29]
	s_mov_b32 s47, 0x3fe82f19
	s_mov_b32 s46, s30
	v_fma_f64 v[124:125], s[16:17], v[242:243], v[122:123]
	v_add_f64 v[138:139], v[142:143], v[138:139]
	v_accvgpr_write_b32 a128, v104
	v_mul_f64 v[104:105], v[102:103], s[0:1]
	v_mul_f64 v[110:111], v[94:95], s[18:19]
	v_fma_f64 v[120:121], s[46:47], v[10:11], v[118:119]
	v_add_f64 v[124:125], v[124:125], v[138:139]
	v_accvgpr_write_b32 a139, v105
	v_mul_f64 v[108:109], v[102:103], s[20:21]
	v_fma_f64 v[106:107], s[24:25], v[24:25], v[110:111]
	v_add_f64 v[120:121], v[120:121], v[124:125]
	v_accvgpr_write_b32 a2, v130
	v_accvgpr_write_b32 a3, v131
	v_mul_f64 v[130:131], v[230:231], s[42:43]
	v_fmac_f64_e32 v[126:127], s[42:43], v[222:223]
	v_accvgpr_write_b32 a138, v104
	v_fma_f64 v[104:105], s[40:41], v[92:93], v[108:109]
	v_add_f64 v[106:107], v[106:107], v[120:121]
	v_mul_f64 v[128:129], v[250:251], s[44:45]
	v_accvgpr_write_b32 a21, v132
	v_accvgpr_write_b32 a38, v133
	v_fma_f64 v[132:133], s[34:35], v[214:215], v[130:131]
	v_fmac_f64_e32 v[122:123], s[44:45], v[242:243]
	v_add_f64 v[126:127], v[142:143], v[126:127]
	v_add_f64 v[106:107], v[104:105], v[106:107]
	v_mul_f64 v[138:139], v[22:23], s[30:31]
	v_fma_f64 v[104:105], s[0:1], v[224:225], v[128:129]
	v_add_f64 v[132:133], v[140:141], v[132:133]
	v_fmac_f64_e32 v[118:119], s[30:31], v[10:11]
	v_add_f64 v[122:123], v[122:123], v[126:127]
	v_mul_f64 v[124:125], v[182:183], s[36:37]
	v_add_f64 v[104:105], v[104:105], v[132:133]
	v_fma_f64 v[132:133], s[28:29], v[0:1], v[138:139]
	v_fmac_f64_e32 v[110:111], s[36:37], v[24:25]
	v_add_f64 v[118:119], v[118:119], v[122:123]
	v_accvgpr_write_b32 a0, v184
	v_add_f64 v[104:105], v[132:133], v[104:105]
	v_fma_f64 v[132:133], s[18:19], v[16:17], v[124:125]
	v_add_f64 v[110:111], v[110:111], v[118:119]
	v_fma_f64 v[118:119], v[16:17], s[18:19], -v[124:125]
	v_fma_f64 v[124:125], v[214:215], s[34:35], -v[130:131]
	v_mul_f64 v[126:127], v[236:237], s[28:29]
	v_accvgpr_write_b32 a1, v185
	v_mul_f64 v[184:185], v[6:7], s[34:35]
	v_mul_f64 v[120:121], v[100:101], s[26:27]
	v_fmac_f64_e32 v[108:109], s[26:27], v[92:93]
	v_fma_f64 v[122:123], v[224:225], s[0:1], -v[128:129]
	v_add_f64 v[124:125], v[140:141], v[124:125]
	v_mul_f64 v[6:7], v[6:7], s[20:21]
	v_fma_f64 v[128:129], s[46:47], v[222:223], v[126:127]
	v_mul_f64 v[136:137], v[26:27], s[18:19]
	v_add_f64 v[104:105], v[132:133], v[104:105]
	v_fma_f64 v[132:133], s[20:21], v[30:31], v[120:121]
	v_add_f64 v[110:111], v[108:109], v[110:111]
	v_fma_f64 v[108:109], v[30:31], s[20:21], -v[120:121]
	v_fma_f64 v[120:121], v[0:1], s[28:29], -v[138:139]
	v_add_f64 v[122:123], v[122:123], v[124:125]
	v_mul_f64 v[26:27], v[26:27], s[0:1]
	v_fma_f64 v[124:125], s[26:27], v[242:243], v[6:7]
	v_add_f64 v[128:129], v[142:143], v[128:129]
	v_mul_f64 v[114:115], v[94:95], s[0:1]
	v_add_f64 v[120:121], v[120:121], v[122:123]
	v_mul_f64 v[94:95], v[94:95], s[34:35]
	v_fma_f64 v[122:123], s[44:45], v[10:11], v[26:27]
	v_add_f64 v[124:125], v[124:125], v[128:129]
	v_add_f64 v[118:119], v[118:119], v[120:121]
	v_fma_f64 v[120:121], s[38:39], v[24:25], v[94:95]
	v_add_f64 v[122:123], v[122:123], v[124:125]
	v_mul_f64 v[22:23], v[22:23], s[16:17]
	v_mul_f64 v[138:139], v[230:231], s[30:31]
	v_fmac_f64_e32 v[126:127], s[30:31], v[222:223]
	v_add_f64 v[120:121], v[120:121], v[122:123]
	v_mul_f64 v[122:123], v[182:183], s[42:43]
	v_fma_f64 v[128:129], s[0:1], v[0:1], v[22:23]
	v_mul_f64 v[130:131], v[250:251], s[40:41]
	v_fmac_f64_e32 v[26:27], s[16:17], v[10:11]
	v_fmac_f64_e32 v[6:7], s[40:41], v[242:243]
	v_add_f64 v[10:11], v[142:143], v[126:127]
	v_fma_f64 v[0:1], v[0:1], s[0:1], -v[22:23]
	v_fma_f64 v[22:23], v[214:215], s[28:29], -v[138:139]
	v_mul_f64 v[112:113], v[16:17], s[0:1]
	v_fma_f64 v[124:125], s[34:35], v[16:17], v[122:123]
	v_add_f64 v[6:7], v[6:7], v[10:11]
	v_fma_f64 v[10:11], v[16:17], s[34:35], -v[122:123]
	v_fma_f64 v[16:17], v[224:225], s[20:21], -v[130:131]
	v_add_f64 v[22:23], v[140:141], v[22:23]
	v_add_f64 v[16:17], v[16:17], v[22:23]
	;; [unrolled: 1-line block ×3, first 2 shown]
	v_accvgpr_read_b32 v16, a134
	v_add_f64 v[108:109], v[108:109], v[118:119]
	v_mul_f64 v[118:119], v[102:103], s[18:19]
	v_accvgpr_read_b32 v17, a135
	v_add_f64 v[104:105], v[132:133], v[104:105]
	v_mul_f64 v[132:133], v[102:103], s[28:29]
	v_fma_f64 v[102:103], s[24:25], v[92:93], v[118:119]
	v_fmac_f64_e32 v[94:95], s[42:43], v[24:25]
	v_add_f64 v[6:7], v[26:27], v[6:7]
	v_add_f64 v[16:17], v[218:219], v[16:17]
	;; [unrolled: 1-line block ×3, first 2 shown]
	v_mul_f64 v[120:121], v[100:101], s[36:37]
	v_fmac_f64_e32 v[118:119], s[36:37], v[92:93]
	v_add_f64 v[6:7], v[94:95], v[6:7]
	v_add_f64 v[0:1], v[10:11], v[0:1]
	;; [unrolled: 1-line block ×5, first 2 shown]
	v_fma_f64 v[6:7], v[30:31], s[18:19], -v[120:121]
	v_add_f64 v[8:9], v[8:9], v[136:137]
	v_add_f64 v[10:11], v[10:11], v[16:17]
	v_add_f64 v[22:23], v[6:7], v[0:1]
	v_add_f64 v[6:7], v[20:21], v[114:115]
	v_add_f64 v[8:9], v[8:9], v[10:11]
	v_add_f64 v[0:1], v[186:187], v[132:133]
	v_add_f64 v[6:7], v[6:7], v[8:9]
	v_accvgpr_read_b32 v16, a124
	v_add_f64 v[8:9], v[0:1], v[6:7]
	v_add_f64 v[6:7], v[112:113], -v[14:15]
	v_accvgpr_read_b32 v14, a130
	v_accvgpr_read_b32 v17, a125
	;; [unrolled: 1-line block ×4, first 2 shown]
	v_add_f64 v[16:17], v[16:17], -v[212:213]
	v_accvgpr_read_b32 v11, a137
	v_add_f64 v[14:15], v[14:15], -v[238:239]
	v_add_f64 v[16:17], v[140:141], v[16:17]
	v_add_f64 v[10:11], v[10:11], -v[254:255]
	v_add_f64 v[14:15], v[14:15], v[16:17]
	v_add_f64 v[10:11], v[10:11], v[14:15]
	v_add_f64 v[6:7], v[6:7], v[10:11]
	v_accvgpr_read_b32 v10, a132
	v_accvgpr_read_b32 v16, a114
	;; [unrolled: 1-line block ×5, first 2 shown]
	v_mul_f64 v[116:117], v[30:31], s[28:29]
	v_add_f64 v[4:5], v[4:5], v[10:11]
	v_accvgpr_read_b32 v10, a126
	v_accvgpr_read_b32 v15, a121
	v_add_f64 v[16:17], v[210:211], v[16:17]
	v_add_f64 v[0:1], v[116:117], -v[28:29]
	v_accvgpr_read_b32 v11, a127
	v_add_f64 v[14:15], v[226:227], v[14:15]
	v_add_f64 v[16:17], v[142:143], v[16:17]
	;; [unrolled: 1-line block ×3, first 2 shown]
	v_accvgpr_read_b32 v0, a138
	v_add_f64 v[10:11], v[244:245], v[10:11]
	v_add_f64 v[14:15], v[14:15], v[16:17]
	v_accvgpr_read_b32 v1, a139
	v_add_f64 v[10:11], v[10:11], v[14:15]
	v_add_f64 v[0:1], v[18:19], v[0:1]
	;; [unrolled: 1-line block ×4, first 2 shown]
	v_accvgpr_read_b32 v0, a128
	v_accvgpr_read_b32 v1, a129
	v_accvgpr_read_b32 v16, a104
	v_add_f64 v[0:1], v[0:1], -v[12:13]
	v_accvgpr_read_b32 v12, a110
	v_accvgpr_read_b32 v17, a105
	;; [unrolled: 1-line block ×4, first 2 shown]
	v_add_f64 v[16:17], v[16:17], -v[176:177]
	v_accvgpr_read_b32 v4, a122
	v_accvgpr_read_b32 v11, a117
	v_add_f64 v[12:13], v[12:13], -v[216:217]
	v_add_f64 v[16:17], v[140:141], v[16:17]
	v_accvgpr_read_b32 v5, a123
	v_add_f64 v[10:11], v[10:11], -v[234:235]
	v_add_f64 v[12:13], v[12:13], v[16:17]
	v_add_f64 v[4:5], v[4:5], -v[252:253]
	v_add_f64 v[10:11], v[10:11], v[12:13]
	v_add_f64 v[4:5], v[4:5], v[10:11]
	v_accvgpr_read_b32 v16, a96
	v_add_f64 v[12:13], v[0:1], v[4:5]
	v_accvgpr_read_b32 v0, a118
	v_accvgpr_read_b32 v10, a100
	;; [unrolled: 1-line block ×6, first 2 shown]
	v_add_f64 v[16:17], v[172:173], v[16:17]
	v_add_f64 v[0:1], v[2:3], v[0:1]
	v_accvgpr_read_b32 v2, a112
	v_accvgpr_read_b32 v5, a107
	v_add_f64 v[10:11], v[178:179], v[10:11]
	v_add_f64 v[16:17], v[142:143], v[16:17]
	v_accvgpr_read_b32 v18, a92
	v_accvgpr_read_b32 v3, a113
	;; [unrolled: 4-line block ×4, first 2 shown]
	v_add_f64 v[18:19], v[18:19], -v[170:171]
	v_add_f64 v[2:3], v[2:3], v[4:5]
	v_accvgpr_read_b32 v4, a102
	v_accvgpr_read_b32 v11, a99
	v_add_f64 v[16:17], v[16:17], -v[174:175]
	v_add_f64 v[18:19], v[140:141], v[18:19]
	v_add_f64 v[2:3], v[0:1], v[2:3]
	v_accvgpr_read_b32 v0, a108
	v_accvgpr_read_b32 v5, a103
	v_add_f64 v[10:11], v[10:11], -v[220:221]
	v_add_f64 v[16:17], v[16:17], v[18:19]
	v_accvgpr_read_b32 v1, a109
	v_add_f64 v[4:5], v[4:5], -v[232:233]
	v_add_f64 v[10:11], v[10:11], v[16:17]
	v_add_f64 v[0:1], v[0:1], -v[248:249]
	v_add_f64 v[4:5], v[4:5], v[10:11]
	v_add_f64 v[0:1], v[0:1], v[4:5]
	;; [unrolled: 1-line block ×17, first 2 shown]
	v_fma_f64 v[182:183], s[28:29], v[214:215], v[138:139]
	v_add_f64 v[4:5], v[4:5], v[160:161]
	v_mov_b32_e32 v236, v134
	v_mov_b32_e32 v237, v135
	v_fma_f64 v[134:135], s[20:21], v[224:225], v[130:131]
	v_add_f64 v[182:183], v[140:141], v[182:183]
	v_add_f64 v[4:5], v[4:5], v[162:163]
	;; [unrolled: 1-line block ×5, first 2 shown]
	v_accvgpr_read_b32 v139, a91
	v_accvgpr_read_b32 v185, a1
	v_add_f64 v[4:5], v[4:5], v[166:167]
	v_fma_f64 v[100:101], s[18:19], v[30:31], v[120:121]
	v_mov_b32_e32 v135, v237
	v_mov_b32_e32 v134, v236
	v_add_f64 v[124:125], v[124:125], v[128:129]
	v_accvgpr_read_b32 v131, a3
	v_accvgpr_read_b32 v130, a2
	;; [unrolled: 1-line block ×8, first 2 shown]
	v_add_f64 v[16:17], v[4:5], v[168:169]
	v_add_f64 v[100:101], v[100:101], v[124:125]
	ds_write_b128 v180, v[16:19]
	ds_write_b128 v180, v[0:3] offset:1440
	ds_write_b128 v180, v[12:15] offset:2880
	;; [unrolled: 1-line block ×10, first 2 shown]
.LBB0_15:
	s_or_b64 exec, exec, s[22:23]
	v_lshlrev_b32_e32 v0, 4, v130
	v_mov_b32_e32 v1, 0
	v_lshl_add_u64 v[24:25], s[14:15], 0, v[0:1]
	s_movk_i32 s14, 0x3000
	s_mov_b64 s[0:1], 0x3de0
	v_add_co_u32_e32 v0, vcc, s14, v24
	v_lshl_add_u64 v[152:153], v[24:25], 0, s[0:1]
	s_nop 0
	v_addc_co_u32_e32 v1, vcc, 0, v25, vcc
	s_movk_i32 s0, 0x5000
	v_add_co_u32_e32 v20, vcc, s0, v24
	s_movk_i32 s0, 0x6000
	s_nop 0
	v_addc_co_u32_e32 v21, vcc, 0, v25, vcc
	v_add_co_u32_e32 v16, vcc, s0, v24
	s_movk_i32 s0, 0x7000
	s_nop 0
	v_addc_co_u32_e32 v17, vcc, 0, v25, vcc
	v_add_co_u32_e32 v24, vcc, s0, v24
	s_waitcnt lgkmcnt(0)
	s_barrier
	global_load_dwordx4 v[140:143], v[0:1], off offset:3552
	v_addc_co_u32_e32 v25, vcc, 0, v25, vcc
	global_load_dwordx4 v[0:3], v[20:21], off offset:3280
	global_load_dwordx4 v[4:7], v[152:153], off offset:1760
	;; [unrolled: 1-line block ×4, first 2 shown]
	s_nop 0
	global_load_dwordx4 v[16:19], v[16:17], off offset:2704
	s_nop 0
	global_load_dwordx4 v[20:23], v[20:21], off offset:640
	;; [unrolled: 2-line block ×3, first 2 shown]
	ds_read_b128 v[28:31], v180
	ds_read_b128 v[92:95], v180 offset:1760
	ds_read_b128 v[100:103], v180 offset:7920
	;; [unrolled: 1-line block ×7, first 2 shown]
	s_waitcnt vmcnt(7) lgkmcnt(7)
	v_mul_f64 v[112:113], v[30:31], v[142:143]
	v_mul_f64 v[168:169], v[28:29], v[142:143]
	s_waitcnt vmcnt(6) lgkmcnt(5)
	v_mul_f64 v[114:115], v[102:103], v[2:3]
	v_mul_f64 v[142:143], v[100:101], v[2:3]
	s_waitcnt vmcnt(5)
	v_mul_f64 v[116:117], v[94:95], v[6:7]
	v_mul_f64 v[2:3], v[92:93], v[6:7]
	s_waitcnt vmcnt(4) lgkmcnt(4)
	v_mul_f64 v[118:119], v[106:107], v[10:11]
	v_mul_f64 v[6:7], v[104:105], v[10:11]
	s_waitcnt vmcnt(3) lgkmcnt(3)
	;; [unrolled: 3-line block ×3, first 2 shown]
	v_mul_f64 v[122:123], v[160:161], v[18:19]
	v_mul_f64 v[14:15], v[158:159], v[18:19]
	s_waitcnt vmcnt(1)
	v_mul_f64 v[124:125], v[156:157], v[22:23]
	v_mul_f64 v[18:19], v[154:155], v[22:23]
	s_waitcnt vmcnt(0) lgkmcnt(0)
	v_mul_f64 v[126:127], v[164:165], v[26:27]
	v_mul_f64 v[22:23], v[162:163], v[26:27]
	v_fma_f64 v[166:167], v[28:29], v[140:141], -v[112:113]
	v_fmac_f64_e32 v[168:169], v[30:31], v[140:141]
	v_fma_f64 v[140:141], v[100:101], v[0:1], -v[114:115]
	v_fmac_f64_e32 v[142:143], v[102:103], v[0:1]
	v_fma_f64 v[0:1], v[92:93], v[4:5], -v[116:117]
	v_fmac_f64_e32 v[2:3], v[94:95], v[4:5]
	v_fma_f64 v[4:5], v[104:105], v[8:9], -v[118:119]
	v_fmac_f64_e32 v[6:7], v[106:107], v[8:9]
	v_fma_f64 v[8:9], v[108:109], v[12:13], -v[120:121]
	v_fmac_f64_e32 v[10:11], v[110:111], v[12:13]
	v_fma_f64 v[12:13], v[158:159], v[16:17], -v[122:123]
	v_fmac_f64_e32 v[14:15], v[160:161], v[16:17]
	v_fma_f64 v[16:17], v[154:155], v[20:21], -v[124:125]
	v_fmac_f64_e32 v[18:19], v[156:157], v[20:21]
	v_fma_f64 v[20:21], v[162:163], v[24:25], -v[126:127]
	v_fmac_f64_e32 v[22:23], v[164:165], v[24:25]
	ds_write_b128 v180, v[166:169]
	ds_write_b128 v180, v[140:143] offset:7920
	ds_write_b128 v180, v[0:3] offset:1760
	ds_write_b128 v180, v[4:7] offset:9680
	ds_write_b128 v180, v[8:11] offset:3520
	ds_write_b128 v180, v[12:15] offset:11440
	ds_write_b128 v180, v[16:19] offset:5280
	ds_write_b128 v180, v[20:23] offset:13200
	s_and_saveexec_b64 s[0:1], s[6:7]
	s_cbranch_execz .LBB0_17
; %bb.16:
	v_add_co_u32_e32 v0, vcc, 0x1000, v152
	s_nop 1
	v_addc_co_u32_e32 v1, vcc, 0, v153, vcc
	v_add_co_u32_e32 v4, vcc, s14, v152
	global_load_dwordx4 v[0:3], v[0:1], off offset:2944
	s_nop 0
	v_addc_co_u32_e32 v5, vcc, 0, v153, vcc
	global_load_dwordx4 v[4:7], v[4:5], off offset:2672
	ds_read_b128 v[8:11], v180 offset:7040
	ds_read_b128 v[12:15], v180 offset:14960
	s_waitcnt vmcnt(1) lgkmcnt(1)
	v_mul_f64 v[16:17], v[10:11], v[2:3]
	v_mul_f64 v[18:19], v[8:9], v[2:3]
	v_fma_f64 v[16:17], v[8:9], v[0:1], -v[16:17]
	s_waitcnt vmcnt(0) lgkmcnt(0)
	v_mul_f64 v[20:21], v[14:15], v[6:7]
	v_mul_f64 v[2:3], v[12:13], v[6:7]
	v_fmac_f64_e32 v[18:19], v[10:11], v[0:1]
	v_fma_f64 v[0:1], v[12:13], v[4:5], -v[20:21]
	v_fmac_f64_e32 v[2:3], v[14:15], v[4:5]
	ds_write_b128 v180, v[16:19] offset:7040
	ds_write_b128 v180, v[0:3] offset:14960
.LBB0_17:
	s_or_b64 exec, exec, s[0:1]
	s_waitcnt lgkmcnt(0)
	s_barrier
	ds_read_b128 v[172:175], v180
	ds_read_b128 v[160:163], v180 offset:1760
	ds_read_b128 v[176:179], v180 offset:7920
	;; [unrolled: 1-line block ×7, first 2 shown]
	v_accvgpr_read_b32 v0, a43
	v_add_u32_e32 v0, 0x2940, v0
	s_and_saveexec_b64 s[0:1], s[6:7]
	s_cbranch_execz .LBB0_19
; %bb.18:
	ds_read_b128 v[144:147], v180 offset:7040
	ds_read_b128 v[148:151], v180 offset:14960
.LBB0_19:
	s_or_b64 exec, exec, s[0:1]
	s_waitcnt lgkmcnt(5)
	v_add_f64 v[2:3], v[172:173], -v[176:177]
	v_add_f64 v[4:5], v[174:175], -v[178:179]
	s_waitcnt lgkmcnt(0)
	v_add_f64 v[26:27], v[140:141], -v[152:153]
	v_add_f64 v[28:29], v[142:143], -v[154:155]
	v_fma_f64 v[6:7], v[172:173], 2.0, -v[2:3]
	v_fma_f64 v[8:9], v[174:175], 2.0, -v[4:5]
	v_add_f64 v[10:11], v[160:161], -v[168:169]
	v_add_f64 v[12:13], v[162:163], -v[170:171]
	;; [unrolled: 1-line block ×4, first 2 shown]
	v_fma_f64 v[92:93], v[140:141], 2.0, -v[26:27]
	v_fma_f64 v[94:95], v[142:143], 2.0, -v[28:29]
	v_add_f64 v[140:141], v[144:145], -v[148:149]
	v_add_f64 v[142:143], v[146:147], -v[150:151]
	v_fma_f64 v[14:15], v[160:161], 2.0, -v[10:11]
	v_fma_f64 v[16:17], v[162:163], 2.0, -v[12:13]
	;; [unrolled: 1-line block ×4, first 2 shown]
	s_barrier
	ds_write_b128 v132, v[6:9]
	ds_write_b128 v132, v[2:5] offset:16
	ds_write_b128 v133, v[14:17]
	ds_write_b128 v133, v[10:13] offset:16
	;; [unrolled: 2-line block ×4, first 2 shown]
	s_and_saveexec_b64 s[0:1], s[6:7]
	s_cbranch_execz .LBB0_21
; %bb.20:
	v_fma_f64 v[2:3], v[146:147], 2.0, -v[142:143]
	v_fma_f64 v[0:1], v[144:145], 2.0, -v[140:141]
	ds_write_b128 v131, v[0:3]
	ds_write_b128 v131, v[140:143] offset:16
.LBB0_21:
	s_or_b64 exec, exec, s[0:1]
	s_waitcnt lgkmcnt(0)
	s_barrier
	ds_read_b128 v[0:3], v180
	ds_read_b128 v[4:7], v180 offset:1760
	ds_read_b128 v[8:11], v180 offset:10560
	;; [unrolled: 1-line block ×8, first 2 shown]
	s_waitcnt lgkmcnt(4)
	v_mul_f64 v[100:101], v[38:39], v[18:19]
	v_fmac_f64_e32 v[100:101], v[36:37], v[16:17]
	v_mul_f64 v[16:17], v[38:39], v[16:17]
	v_fma_f64 v[16:17], v[36:37], v[18:19], -v[16:17]
	v_mul_f64 v[18:19], v[34:35], v[10:11]
	v_fmac_f64_e32 v[18:19], v[32:33], v[8:9]
	v_mul_f64 v[8:9], v[34:35], v[8:9]
	v_fma_f64 v[102:103], v[32:33], v[10:11], -v[8:9]
	s_waitcnt lgkmcnt(2)
	v_mul_f64 v[8:9], v[38:39], v[24:25]
	v_mul_f64 v[104:105], v[38:39], v[26:27]
	v_fma_f64 v[26:27], v[36:37], v[26:27], -v[8:9]
	v_mul_f64 v[8:9], v[34:35], v[12:13]
	v_fma_f64 v[108:109], v[32:33], v[14:15], -v[8:9]
	s_waitcnt lgkmcnt(1)
	v_mul_f64 v[110:111], v[38:39], v[30:31]
	v_mul_f64 v[8:9], v[38:39], v[28:29]
	v_fmac_f64_e32 v[104:105], v[36:37], v[24:25]
	v_mul_f64 v[106:107], v[34:35], v[14:15]
	v_fmac_f64_e32 v[110:111], v[36:37], v[28:29]
	v_fma_f64 v[36:37], v[36:37], v[30:31], -v[8:9]
	s_waitcnt lgkmcnt(0)
	v_mul_f64 v[8:9], v[34:35], v[92:93]
	v_add_f64 v[10:11], v[100:101], v[18:19]
	s_mov_b32 s0, 0xe8584caa
	v_fmac_f64_e32 v[106:107], v[32:33], v[12:13]
	v_mul_f64 v[38:39], v[34:35], v[94:95]
	v_fma_f64 v[34:35], v[32:33], v[94:95], -v[8:9]
	v_add_f64 v[8:9], v[0:1], v[100:101]
	v_fmac_f64_e32 v[0:1], -0.5, v[10:11]
	v_add_f64 v[10:11], v[16:17], -v[102:103]
	s_mov_b32 s1, 0xbfebb67a
	s_mov_b32 s15, 0x3febb67a
	s_mov_b32 s14, s0
	v_add_f64 v[14:15], v[16:17], v[102:103]
	v_add_f64 v[8:9], v[8:9], v[18:19]
	v_fma_f64 v[12:13], s[0:1], v[10:11], v[0:1]
	v_fmac_f64_e32 v[0:1], s[14:15], v[10:11]
	v_add_f64 v[10:11], v[2:3], v[16:17]
	v_fmac_f64_e32 v[2:3], -0.5, v[14:15]
	v_add_f64 v[16:17], v[100:101], -v[18:19]
	v_add_f64 v[18:19], v[104:105], v[106:107]
	v_fma_f64 v[14:15], s[14:15], v[16:17], v[2:3]
	v_fmac_f64_e32 v[2:3], s[0:1], v[16:17]
	v_add_f64 v[16:17], v[4:5], v[104:105]
	v_fmac_f64_e32 v[4:5], -0.5, v[18:19]
	v_add_f64 v[18:19], v[26:27], -v[108:109]
	v_fmac_f64_e32 v[38:39], v[32:33], v[92:93]
	v_fma_f64 v[24:25], s[0:1], v[18:19], v[4:5]
	v_fmac_f64_e32 v[4:5], s[14:15], v[18:19]
	v_add_f64 v[18:19], v[6:7], v[26:27]
	v_add_f64 v[26:27], v[26:27], v[108:109]
	v_fmac_f64_e32 v[6:7], -0.5, v[26:27]
	v_add_f64 v[28:29], v[104:105], -v[106:107]
	v_add_f64 v[30:31], v[110:111], v[38:39]
	v_fma_f64 v[26:27], s[14:15], v[28:29], v[6:7]
	v_fmac_f64_e32 v[6:7], s[0:1], v[28:29]
	v_add_f64 v[28:29], v[20:21], v[110:111]
	v_fmac_f64_e32 v[20:21], -0.5, v[30:31]
	v_add_f64 v[30:31], v[36:37], -v[34:35]
	v_fma_f64 v[32:33], s[0:1], v[30:31], v[20:21]
	v_fmac_f64_e32 v[20:21], s[14:15], v[30:31]
	v_add_f64 v[30:31], v[22:23], v[36:37]
	v_add_f64 v[30:31], v[30:31], v[34:35]
	;; [unrolled: 1-line block ×3, first 2 shown]
	v_fmac_f64_e32 v[22:23], -0.5, v[34:35]
	v_add_f64 v[36:37], v[110:111], -v[38:39]
	v_add_f64 v[10:11], v[10:11], v[102:103]
	v_fma_f64 v[34:35], s[14:15], v[36:37], v[22:23]
	v_fmac_f64_e32 v[22:23], s[0:1], v[36:37]
	v_accvgpr_read_b32 v36, a40
	v_add_f64 v[16:17], v[16:17], v[106:107]
	v_add_f64 v[18:19], v[18:19], v[108:109]
	s_barrier
	ds_write_b128 v36, v[8:11]
	ds_write_b128 v36, v[12:15] offset:32
	ds_write_b128 v36, v[0:3] offset:64
	v_accvgpr_read_b32 v0, a41
	v_add_f64 v[28:29], v[28:29], v[38:39]
	ds_write_b128 v0, v[16:19]
	ds_write_b128 v0, v[24:27] offset:32
	ds_write_b128 v0, v[4:7] offset:64
	v_accvgpr_read_b32 v0, a42
	ds_write_b128 v0, v[28:31]
	ds_write_b128 v0, v[32:35] offset:32
	ds_write_b128 v0, v[20:23] offset:64
	s_waitcnt lgkmcnt(0)
	s_barrier
	ds_read_b128 v[0:3], v180
	ds_read_b128 v[36:39], v180 offset:1760
	ds_read_b128 v[4:7], v180 offset:10560
	;; [unrolled: 1-line block ×8, first 2 shown]
	s_waitcnt lgkmcnt(4)
	v_mul_f64 v[28:29], v[46:47], v[14:15]
	v_fmac_f64_e32 v[28:29], v[44:45], v[12:13]
	v_mul_f64 v[12:13], v[46:47], v[12:13]
	v_fma_f64 v[12:13], v[44:45], v[14:15], -v[12:13]
	v_mul_f64 v[14:15], v[42:43], v[6:7]
	v_fmac_f64_e32 v[14:15], v[40:41], v[4:5]
	v_mul_f64 v[4:5], v[42:43], v[4:5]
	v_fma_f64 v[30:31], v[40:41], v[6:7], -v[4:5]
	s_waitcnt lgkmcnt(2)
	v_mul_f64 v[4:5], v[54:55], v[16:17]
	v_mul_f64 v[40:41], v[54:55], v[18:19]
	v_fma_f64 v[18:19], v[52:53], v[18:19], -v[4:5]
	v_mul_f64 v[4:5], v[50:51], v[8:9]
	v_mul_f64 v[42:43], v[50:51], v[10:11]
	v_fma_f64 v[44:45], v[48:49], v[10:11], -v[4:5]
	s_waitcnt lgkmcnt(1)
	v_mul_f64 v[50:51], v[62:63], v[22:23]
	v_mul_f64 v[4:5], v[62:63], v[20:21]
	v_fmac_f64_e32 v[50:51], v[60:61], v[20:21]
	v_fma_f64 v[20:21], v[60:61], v[22:23], -v[4:5]
	s_waitcnt lgkmcnt(0)
	v_mul_f64 v[22:23], v[58:59], v[26:27]
	v_mul_f64 v[4:5], v[58:59], v[24:25]
	v_add_f64 v[6:7], v[28:29], v[14:15]
	v_fmac_f64_e32 v[40:41], v[52:53], v[16:17]
	v_fmac_f64_e32 v[42:43], v[48:49], v[8:9]
	;; [unrolled: 1-line block ×3, first 2 shown]
	v_fma_f64 v[24:25], v[56:57], v[26:27], -v[4:5]
	v_add_f64 v[4:5], v[0:1], v[28:29]
	v_fmac_f64_e32 v[0:1], -0.5, v[6:7]
	v_add_f64 v[6:7], v[12:13], -v[30:31]
	v_add_f64 v[10:11], v[12:13], v[30:31]
	v_add_f64 v[4:5], v[4:5], v[14:15]
	v_fma_f64 v[8:9], s[0:1], v[6:7], v[0:1]
	v_fmac_f64_e32 v[0:1], s[14:15], v[6:7]
	v_add_f64 v[6:7], v[2:3], v[12:13]
	v_fmac_f64_e32 v[2:3], -0.5, v[10:11]
	v_add_f64 v[12:13], v[28:29], -v[14:15]
	v_add_f64 v[14:15], v[40:41], v[42:43]
	v_fma_f64 v[10:11], s[14:15], v[12:13], v[2:3]
	v_fmac_f64_e32 v[2:3], s[0:1], v[12:13]
	v_add_f64 v[12:13], v[36:37], v[40:41]
	v_fmac_f64_e32 v[36:37], -0.5, v[14:15]
	v_add_f64 v[14:15], v[18:19], -v[44:45]
	v_fma_f64 v[16:17], s[0:1], v[14:15], v[36:37]
	v_fmac_f64_e32 v[36:37], s[14:15], v[14:15]
	v_add_f64 v[14:15], v[38:39], v[18:19]
	v_add_f64 v[18:19], v[18:19], v[44:45]
	v_fmac_f64_e32 v[38:39], -0.5, v[18:19]
	v_add_f64 v[26:27], v[40:41], -v[42:43]
	v_fma_f64 v[18:19], s[14:15], v[26:27], v[38:39]
	v_fmac_f64_e32 v[38:39], s[0:1], v[26:27]
	v_add_f64 v[26:27], v[32:33], v[50:51]
	v_add_f64 v[14:15], v[14:15], v[44:45]
	;; [unrolled: 1-line block ×4, first 2 shown]
	v_fmac_f64_e32 v[32:33], -0.5, v[26:27]
	v_add_f64 v[26:27], v[20:21], -v[24:25]
	v_fma_f64 v[48:49], s[0:1], v[26:27], v[32:33]
	v_fmac_f64_e32 v[32:33], s[14:15], v[26:27]
	v_add_f64 v[26:27], v[34:35], v[20:21]
	v_add_f64 v[20:21], v[20:21], v[24:25]
	v_fmac_f64_e32 v[34:35], -0.5, v[20:21]
	v_add_f64 v[20:21], v[50:51], -v[22:23]
	v_add_f64 v[6:7], v[6:7], v[30:31]
	v_fma_f64 v[50:51], s[14:15], v[20:21], v[34:35]
	v_fmac_f64_e32 v[34:35], s[0:1], v[20:21]
	v_accvgpr_read_b32 v20, a44
	v_add_f64 v[12:13], v[12:13], v[42:43]
	s_barrier
	ds_write_b128 v20, v[4:7]
	ds_write_b128 v20, v[8:11] offset:96
	ds_write_b128 v20, v[0:3] offset:192
	v_accvgpr_read_b32 v0, a45
	v_add_f64 v[46:47], v[26:27], v[24:25]
	ds_write_b128 v0, v[12:15]
	ds_write_b128 v0, v[16:19] offset:96
	ds_write_b128 v0, v[36:39] offset:192
	v_accvgpr_read_b32 v0, a46
	ds_write_b128 v0, v[44:47]
	ds_write_b128 v0, v[48:51] offset:96
	ds_write_b128 v0, v[32:35] offset:192
	s_waitcnt lgkmcnt(0)
	s_barrier
	ds_read_b128 v[40:43], v180
	ds_read_b128 v[144:147], v180 offset:3168
	ds_read_b128 v[60:63], v180 offset:6336
	;; [unrolled: 1-line block ×4, first 2 shown]
	s_and_saveexec_b64 s[0:1], s[2:3]
	s_cbranch_execz .LBB0_23
; %bb.22:
	ds_read_b128 v[36:39], v180 offset:1760
	ds_read_b128 v[44:47], v180 offset:4928
	;; [unrolled: 1-line block ×5, first 2 shown]
.LBB0_23:
	s_or_b64 exec, exec, s[0:1]
	s_waitcnt lgkmcnt(2)
	v_mul_f64 v[4:5], v[70:71], v[62:63]
	s_waitcnt lgkmcnt(1)
	v_mul_f64 v[8:9], v[74:75], v[58:59]
	v_mul_f64 v[2:3], v[78:79], v[144:145]
	v_fmac_f64_e32 v[4:5], v[68:69], v[60:61]
	v_fmac_f64_e32 v[8:9], v[72:73], v[56:57]
	s_waitcnt lgkmcnt(0)
	v_mul_f64 v[14:15], v[66:67], v[52:53]
	v_mul_f64 v[26:27], v[86:87], v[32:33]
	;; [unrolled: 1-line block ×3, first 2 shown]
	v_fma_f64 v[2:3], v[76:77], v[146:147], -v[2:3]
	v_mul_f64 v[6:7], v[70:71], v[60:61]
	v_mul_f64 v[10:11], v[74:75], v[56:57]
	;; [unrolled: 1-line block ×3, first 2 shown]
	v_fma_f64 v[14:15], v[64:65], v[54:55], -v[14:15]
	v_mul_f64 v[24:25], v[86:87], v[34:35]
	v_fma_f64 v[26:27], v[84:85], v[34:35], -v[26:27]
	v_add_f64 v[34:35], v[4:5], v[8:9]
	s_mov_b32 s14, 0x134454ff
	v_fmac_f64_e32 v[0:1], v[76:77], v[144:145]
	v_fma_f64 v[6:7], v[68:69], v[62:63], -v[6:7]
	v_fma_f64 v[10:11], v[72:73], v[58:59], -v[10:11]
	v_fmac_f64_e32 v[12:13], v[64:65], v[52:53]
	v_mul_f64 v[16:17], v[98:99], v[46:47]
	v_mul_f64 v[18:19], v[98:99], v[44:45]
	;; [unrolled: 1-line block ×4, first 2 shown]
	v_fma_f64 v[52:53], -0.5, v[34:35], v[40:41]
	v_add_f64 v[34:35], v[2:3], -v[14:15]
	s_mov_b32 s15, 0xbfee6f0e
	s_mov_b32 s0, 0x4755a5e
	;; [unrolled: 1-line block ×4, first 2 shown]
	v_fmac_f64_e32 v[16:17], v[96:97], v[44:45]
	v_fma_f64 v[18:19], v[96:97], v[46:47], -v[18:19]
	v_fmac_f64_e32 v[20:21], v[88:89], v[48:49]
	v_fma_f64 v[22:23], v[88:89], v[50:51], -v[22:23]
	v_fma_f64 v[44:45], s[14:15], v[34:35], v[52:53]
	v_add_f64 v[46:47], v[6:7], -v[10:11]
	s_mov_b32 s1, 0xbfe2cf23
	v_add_f64 v[48:49], v[0:1], -v[4:5]
	v_add_f64 v[50:51], v[12:13], -v[8:9]
	s_mov_b32 s16, 0x372fe950
	v_fmac_f64_e32 v[52:53], s[18:19], v[34:35]
	s_mov_b32 s21, 0x3fe2cf23
	s_mov_b32 s20, s0
	v_fmac_f64_e32 v[44:45], s[0:1], v[46:47]
	v_add_f64 v[48:49], v[48:49], v[50:51]
	s_mov_b32 s17, 0x3fd3c6ef
	v_fmac_f64_e32 v[52:53], s[20:21], v[46:47]
	v_fmac_f64_e32 v[44:45], s[16:17], v[48:49]
	;; [unrolled: 1-line block ×3, first 2 shown]
	v_add_f64 v[48:49], v[0:1], v[12:13]
	v_fmac_f64_e32 v[24:25], v[84:85], v[32:33]
	v_add_f64 v[32:33], v[40:41], v[0:1]
	v_fmac_f64_e32 v[40:41], -0.5, v[48:49]
	v_add_f64 v[32:33], v[32:33], v[4:5]
	v_fma_f64 v[48:49], s[18:19], v[46:47], v[40:41]
	v_add_f64 v[50:51], v[4:5], -v[0:1]
	v_add_f64 v[54:55], v[8:9], -v[12:13]
	v_fmac_f64_e32 v[40:41], s[14:15], v[46:47]
	v_add_f64 v[46:47], v[6:7], v[10:11]
	v_add_f64 v[32:33], v[32:33], v[8:9]
	;; [unrolled: 1-line block ×3, first 2 shown]
	v_fma_f64 v[54:55], -0.5, v[46:47], v[42:43]
	v_add_f64 v[0:1], v[0:1], -v[12:13]
	v_add_f64 v[32:33], v[32:33], v[12:13]
	v_fma_f64 v[46:47], s[18:19], v[0:1], v[54:55]
	v_add_f64 v[4:5], v[4:5], -v[8:9]
	v_add_f64 v[8:9], v[2:3], -v[6:7]
	;; [unrolled: 1-line block ×3, first 2 shown]
	v_fmac_f64_e32 v[54:55], s[14:15], v[0:1]
	v_fmac_f64_e32 v[46:47], s[20:21], v[4:5]
	v_add_f64 v[8:9], v[8:9], v[12:13]
	v_fmac_f64_e32 v[54:55], s[0:1], v[4:5]
	v_fmac_f64_e32 v[46:47], s[16:17], v[8:9]
	;; [unrolled: 1-line block ×3, first 2 shown]
	v_add_f64 v[8:9], v[2:3], v[14:15]
	v_fmac_f64_e32 v[48:49], s[0:1], v[34:35]
	v_fmac_f64_e32 v[40:41], s[20:21], v[34:35]
	v_add_f64 v[34:35], v[42:43], v[2:3]
	v_fmac_f64_e32 v[42:43], -0.5, v[8:9]
	v_fmac_f64_e32 v[48:49], s[16:17], v[50:51]
	v_fmac_f64_e32 v[40:41], s[16:17], v[50:51]
	v_fma_f64 v[50:51], s[14:15], v[4:5], v[42:43]
	v_fmac_f64_e32 v[42:43], s[18:19], v[4:5]
	v_fmac_f64_e32 v[50:51], s[20:21], v[0:1]
	;; [unrolled: 1-line block ×3, first 2 shown]
	v_add_f64 v[0:1], v[36:37], v[16:17]
	v_mul_f64 v[28:29], v[82:83], v[142:143]
	v_add_f64 v[0:1], v[0:1], v[20:21]
	v_fmac_f64_e32 v[28:29], v[80:81], v[140:141]
	v_mul_f64 v[30:31], v[82:83], v[140:141]
	v_add_f64 v[0:1], v[0:1], v[24:25]
	v_fma_f64 v[30:31], v[80:81], v[142:143], -v[30:31]
	v_add_f64 v[34:35], v[34:35], v[6:7]
	v_add_f64 v[2:3], v[6:7], -v[2:3]
	v_add_f64 v[6:7], v[10:11], -v[14:15]
	v_add_f64 v[60:61], v[0:1], v[28:29]
	v_add_f64 v[0:1], v[20:21], v[24:25]
	;; [unrolled: 1-line block ×3, first 2 shown]
	v_fma_f64 v[56:57], -0.5, v[0:1], v[36:37]
	v_add_f64 v[0:1], v[18:19], -v[30:31]
	v_fmac_f64_e32 v[50:51], s[16:17], v[2:3]
	v_fmac_f64_e32 v[42:43], s[16:17], v[2:3]
	v_fma_f64 v[64:65], s[14:15], v[0:1], v[56:57]
	v_add_f64 v[2:3], v[22:23], -v[26:27]
	v_add_f64 v[4:5], v[16:17], -v[20:21]
	v_add_f64 v[6:7], v[28:29], -v[24:25]
	v_fmac_f64_e32 v[56:57], s[18:19], v[0:1]
	v_fmac_f64_e32 v[64:65], s[0:1], v[2:3]
	v_add_f64 v[4:5], v[4:5], v[6:7]
	v_fmac_f64_e32 v[56:57], s[20:21], v[2:3]
	v_fmac_f64_e32 v[64:65], s[16:17], v[4:5]
	;; [unrolled: 1-line block ×3, first 2 shown]
	v_add_f64 v[4:5], v[16:17], v[28:29]
	v_fmac_f64_e32 v[36:37], -0.5, v[4:5]
	v_fma_f64 v[68:69], s[18:19], v[2:3], v[36:37]
	v_fmac_f64_e32 v[36:37], s[14:15], v[2:3]
	v_fmac_f64_e32 v[68:69], s[0:1], v[0:1]
	;; [unrolled: 1-line block ×3, first 2 shown]
	v_add_f64 v[0:1], v[38:39], v[18:19]
	v_add_f64 v[0:1], v[0:1], v[22:23]
	;; [unrolled: 1-line block ×3, first 2 shown]
	v_add_f64 v[4:5], v[20:21], -v[16:17]
	v_add_f64 v[6:7], v[24:25], -v[28:29]
	v_add_f64 v[62:63], v[0:1], v[30:31]
	v_add_f64 v[0:1], v[22:23], v[26:27]
	;; [unrolled: 1-line block ×3, first 2 shown]
	v_fma_f64 v[58:59], -0.5, v[0:1], v[38:39]
	v_add_f64 v[0:1], v[16:17], -v[28:29]
	v_fmac_f64_e32 v[68:69], s[16:17], v[4:5]
	v_fmac_f64_e32 v[36:37], s[16:17], v[4:5]
	v_fma_f64 v[66:67], s[18:19], v[0:1], v[58:59]
	v_add_f64 v[2:3], v[20:21], -v[24:25]
	v_add_f64 v[4:5], v[18:19], -v[22:23]
	;; [unrolled: 1-line block ×3, first 2 shown]
	v_fmac_f64_e32 v[58:59], s[14:15], v[0:1]
	v_fmac_f64_e32 v[66:67], s[20:21], v[2:3]
	v_add_f64 v[4:5], v[4:5], v[6:7]
	v_fmac_f64_e32 v[58:59], s[0:1], v[2:3]
	v_fmac_f64_e32 v[66:67], s[16:17], v[4:5]
	;; [unrolled: 1-line block ×3, first 2 shown]
	v_add_f64 v[4:5], v[18:19], v[30:31]
	v_fmac_f64_e32 v[38:39], -0.5, v[4:5]
	v_fma_f64 v[70:71], s[14:15], v[2:3], v[38:39]
	v_add_f64 v[4:5], v[22:23], -v[18:19]
	v_add_f64 v[6:7], v[26:27], -v[30:31]
	v_fmac_f64_e32 v[38:39], s[18:19], v[2:3]
	v_add_f64 v[34:35], v[34:35], v[10:11]
	v_fmac_f64_e32 v[70:71], s[20:21], v[0:1]
	v_add_f64 v[4:5], v[4:5], v[6:7]
	;; [unrolled: 2-line block ×3, first 2 shown]
	v_fmac_f64_e32 v[70:71], s[16:17], v[4:5]
	v_fmac_f64_e32 v[38:39], s[16:17], v[4:5]
	s_barrier
	ds_write_b128 v181, v[32:35]
	ds_write_b128 v181, v[44:47] offset:288
	ds_write_b128 v181, v[48:51] offset:576
	;; [unrolled: 1-line block ×4, first 2 shown]
	s_and_saveexec_b64 s[0:1], s[2:3]
	s_cbranch_execz .LBB0_25
; %bb.24:
	v_mul_u32_u24_e32 v0, 0x5a, v135
	v_accvgpr_read_b32 v1, a39
	v_add_lshl_u32 v0, v0, v1, 4
	ds_write_b128 v0, v[60:63]
	ds_write_b128 v0, v[64:67] offset:288
	ds_write_b128 v0, v[68:71] offset:576
	ds_write_b128 v0, v[36:39] offset:864
	ds_write_b128 v0, v[56:59] offset:1152
.LBB0_25:
	s_or_b64 exec, exec, s[0:1]
	s_waitcnt lgkmcnt(0)
	s_barrier
	s_and_saveexec_b64 s[0:1], s[4:5]
	s_cbranch_execz .LBB0_27
; %bb.26:
	ds_read_b128 v[32:35], v180
	ds_read_b128 v[44:47], v180 offset:1440
	ds_read_b128 v[48:51], v180 offset:2880
	;; [unrolled: 1-line block ×10, first 2 shown]
.LBB0_27:
	s_or_b64 exec, exec, s[0:1]
	s_and_saveexec_b64 s[0:1], s[4:5]
	s_cbranch_execz .LBB0_29
; %bb.28:
	v_accvgpr_read_b32 v8, a84
	v_accvgpr_read_b32 v10, a86
	;; [unrolled: 1-line block ×4, first 2 shown]
	s_waitcnt lgkmcnt(5)
	v_mul_f64 v[72:73], v[10:11], v[62:63]
	v_mul_f64 v[2:3], v[10:11], v[60:61]
	v_fmac_f64_e32 v[72:73], v[8:9], v[60:61]
	v_accvgpr_read_b32 v4, a80
	v_fma_f64 v[76:77], v[8:9], v[62:63], -v[2:3]
	v_accvgpr_read_b32 v8, a60
	v_accvgpr_read_b32 v6, a82
	;; [unrolled: 1-line block ×6, first 2 shown]
	s_waitcnt lgkmcnt(4)
	v_mul_f64 v[74:75], v[6:7], v[66:67]
	v_mul_f64 v[2:3], v[6:7], v[64:65]
	v_accvgpr_read_b32 v9, a61
	v_accvgpr_read_b32 v14, a78
	;; [unrolled: 1-line block ×3, first 2 shown]
	v_mul_f64 v[6:7], v[10:11], v[52:53]
	v_accvgpr_read_b32 v13, a77
	s_waitcnt lgkmcnt(3)
	v_mul_f64 v[62:63], v[14:15], v[70:71]
	v_fma_f64 v[78:79], v[8:9], v[54:55], -v[6:7]
	v_mul_f64 v[6:7], v[14:15], v[68:69]
	v_mul_f64 v[60:61], v[10:11], v[54:55]
	v_fmac_f64_e32 v[62:63], v[12:13], v[68:69]
	v_fma_f64 v[54:55], v[12:13], v[70:71], -v[6:7]
	v_accvgpr_read_b32 v12, a56
	v_accvgpr_read_b32 v14, a58
	;; [unrolled: 1-line block ×7, first 2 shown]
	v_mul_f64 v[10:11], v[14:15], v[40:41]
	v_fmac_f64_e32 v[60:61], v[8:9], v[52:53]
	v_accvgpr_read_b32 v17, a69
	s_waitcnt lgkmcnt(2)
	v_mul_f64 v[52:53], v[18:19], v[38:39]
	v_fma_f64 v[84:85], v[12:13], v[42:43], -v[10:11]
	v_mul_f64 v[10:11], v[18:19], v[36:37]
	v_fmac_f64_e32 v[52:53], v[16:17], v[36:37]
	v_fma_f64 v[70:71], v[16:17], v[38:39], -v[10:11]
	v_accvgpr_read_b32 v16, a52
	v_accvgpr_read_b32 v5, a81
	;; [unrolled: 1-line block ×5, first 2 shown]
	v_fmac_f64_e32 v[74:75], v[4:5], v[64:65]
	v_fma_f64 v[64:65], v[4:5], v[66:67], -v[2:3]
	v_mul_f64 v[66:67], v[14:15], v[42:43]
	v_accvgpr_read_b32 v17, a53
	v_accvgpr_read_b32 v22, a74
	;; [unrolled: 1-line block ×3, first 2 shown]
	v_mul_f64 v[14:15], v[18:19], v[48:49]
	v_accvgpr_read_b32 v21, a73
	s_waitcnt lgkmcnt(1)
	v_mul_f64 v[68:69], v[22:23], v[58:59]
	v_fma_f64 v[96:97], v[16:17], v[50:51], -v[14:15]
	v_mul_f64 v[14:15], v[22:23], v[56:57]
	v_fmac_f64_e32 v[68:69], v[20:21], v[56:57]
	v_fma_f64 v[58:59], v[20:21], v[58:59], -v[14:15]
	v_accvgpr_read_b32 v20, a48
	v_accvgpr_read_b32 v24, a64
	;; [unrolled: 1-line block ×6, first 2 shown]
	v_mul_f64 v[82:83], v[18:19], v[50:51]
	v_accvgpr_read_b32 v21, a49
	v_mul_f64 v[90:91], v[22:23], v[46:47]
	v_accvgpr_read_b32 v25, a65
	s_waitcnt lgkmcnt(0)
	v_mul_f64 v[56:57], v[26:27], v[138:139]
	v_mul_f64 v[18:19], v[22:23], v[44:45]
	v_fmac_f64_e32 v[90:91], v[20:21], v[44:45]
	v_fmac_f64_e32 v[56:57], v[24:25], v[136:137]
	s_mov_b32 s26, 0xfd768dbf
	v_fma_f64 v[94:95], v[20:21], v[46:47], -v[18:19]
	v_mul_f64 v[18:19], v[26:27], v[136:137]
	v_fmac_f64_e32 v[82:83], v[16:17], v[48:49]
	s_mov_b32 s28, 0xf8bb580b
	v_add_f64 v[120:121], v[90:91], -v[56:57]
	s_mov_b32 s27, 0xbfd207e7
	v_fma_f64 v[92:93], v[24:25], v[138:139], -v[18:19]
	s_mov_b32 s24, 0x9bcd5057
	v_fmac_f64_e32 v[66:67], v[12:13], v[40:41]
	s_mov_b32 s22, 0xbb3a28a1
	v_add_f64 v[106:107], v[82:83], -v[68:69]
	s_mov_b32 s29, 0x3fe14ced
	s_mov_b32 s20, 0x8764f0ba
	v_mul_f64 v[16:17], v[120:121], s[26:27]
	v_add_f64 v[102:103], v[94:95], v[92:93]
	s_mov_b32 s25, 0xbfeeb42a
	v_add_f64 v[108:109], v[66:67], -v[52:53]
	s_mov_b32 s23, 0xbfe82f19
	s_mov_b32 s18, 0x7f775887
	v_mul_f64 v[12:13], v[106:107], s[28:29]
	v_add_f64 v[100:101], v[96:97], v[58:59]
	s_mov_b32 s21, 0x3feaeb8c
	v_fma_f64 v[18:19], s[24:25], v[102:103], v[16:17]
	v_mov_b32_e32 v140, v130
	v_add_f64 v[130:131], v[94:95], -v[92:93]
	s_mov_b32 s4, 0x43842ef
	v_add_f64 v[98:99], v[60:61], -v[62:63]
	s_mov_b32 s17, 0x3fed1bb4
	s_mov_b32 s16, 0x8eee2c13
	;; [unrolled: 1-line block ×3, first 2 shown]
	v_mul_f64 v[8:9], v[108:109], s[22:23]
	v_add_f64 v[104:105], v[84:85], v[70:71]
	s_mov_b32 s19, 0xbfe4f49e
	v_fma_f64 v[14:15], s[20:21], v[100:101], v[12:13]
	v_add_f64 v[18:19], v[34:35], v[18:19]
	v_add_f64 v[128:129], v[96:97], -v[58:59]
	v_add_f64 v[118:119], v[90:91], v[56:57]
	v_mul_f64 v[26:27], v[130:131], s[26:27]
	v_add_f64 v[88:89], v[72:73], -v[74:75]
	s_mov_b32 s5, 0xbfefac9e
	s_mov_b32 s2, 0x640f44db
	v_mul_f64 v[4:5], v[98:99], s[16:17]
	v_add_f64 v[86:87], v[78:79], v[54:55]
	s_mov_b32 s15, 0x3fda9628
	v_fma_f64 v[10:11], s[18:19], v[104:105], v[8:9]
	v_add_f64 v[14:15], v[14:15], v[18:19]
	v_add_f64 v[126:127], v[84:85], -v[70:71]
	v_add_f64 v[116:117], v[82:83], v[68:69]
	v_mul_f64 v[22:23], v[128:129], s[28:29]
	v_fma_f64 v[28:29], v[118:119], s[24:25], -v[26:27]
	v_mul_f64 v[0:1], v[88:89], s[4:5]
	v_add_f64 v[80:81], v[76:77], v[64:65]
	s_mov_b32 s3, 0xbfc2375f
	v_fma_f64 v[6:7], s[14:15], v[86:87], v[4:5]
	v_add_f64 v[10:11], v[10:11], v[14:15]
	v_add_f64 v[124:125], v[78:79], -v[54:55]
	v_add_f64 v[114:115], v[66:67], v[52:53]
	v_mul_f64 v[18:19], v[126:127], s[22:23]
	v_fma_f64 v[24:25], v[116:117], s[20:21], -v[22:23]
	v_add_f64 v[28:29], v[32:33], v[28:29]
	v_fma_f64 v[2:3], s[2:3], v[80:81], v[0:1]
	v_add_f64 v[6:7], v[6:7], v[10:11]
	v_add_f64 v[122:123], v[76:77], -v[64:65]
	v_add_f64 v[112:113], v[60:61], v[62:63]
	v_mul_f64 v[10:11], v[124:125], s[16:17]
	v_fma_f64 v[20:21], v[114:115], s[18:19], -v[18:19]
	v_add_f64 v[24:25], v[24:25], v[28:29]
	v_add_f64 v[38:39], v[2:3], v[6:7]
	;; [unrolled: 1-line block ×3, first 2 shown]
	v_mul_f64 v[2:3], v[122:123], s[4:5]
	v_fma_f64 v[14:15], v[112:113], s[14:15], -v[10:11]
	v_add_f64 v[20:21], v[20:21], v[24:25]
	v_fma_f64 v[6:7], v[110:111], s[2:3], -v[2:3]
	v_add_f64 v[14:15], v[14:15], v[20:21]
	v_add_f64 v[36:37], v[6:7], v[14:15]
	v_fma_f64 v[6:7], v[104:105], s[18:19], -v[8:9]
	v_fma_f64 v[8:9], v[100:101], s[20:21], -v[12:13]
	;; [unrolled: 1-line block ×3, first 2 shown]
	v_add_f64 v[12:13], v[34:35], v[12:13]
	v_add_f64 v[8:9], v[8:9], v[12:13]
	v_fma_f64 v[4:5], v[86:87], s[14:15], -v[4:5]
	v_add_f64 v[6:7], v[6:7], v[8:9]
	v_fma_f64 v[0:1], v[80:81], s[2:3], -v[0:1]
	v_add_f64 v[4:5], v[4:5], v[6:7]
	v_fmac_f64_e32 v[26:27], s[24:25], v[118:119]
	v_add_f64 v[42:43], v[0:1], v[4:5]
	v_fmac_f64_e32 v[22:23], s[20:21], v[116:117]
	;; [unrolled: 2-line block ×3, first 2 shown]
	v_add_f64 v[0:1], v[22:23], v[0:1]
	s_mov_b32 s35, 0x3fefac9e
	s_mov_b32 s34, s4
	v_mul_f64 v[16:17], v[120:121], s[22:23]
	v_add_f64 v[0:1], v[18:19], v[0:1]
	s_mov_b32 s31, 0xbfe14ced
	s_mov_b32 s30, s28
	v_mul_f64 v[12:13], v[106:107], s[34:35]
	v_fma_f64 v[18:19], s[18:19], v[102:103], v[16:17]
	v_fmac_f64_e32 v[10:11], s[14:15], v[112:113]
	v_mul_f64 v[8:9], v[108:109], s[30:31]
	v_fma_f64 v[14:15], s[2:3], v[100:101], v[12:13]
	v_add_f64 v[18:19], v[34:35], v[18:19]
	v_mul_f64 v[26:27], v[130:131], s[22:23]
	v_fmac_f64_e32 v[2:3], s[2:3], v[110:111]
	v_add_f64 v[0:1], v[10:11], v[0:1]
	v_mul_f64 v[4:5], v[98:99], s[26:27]
	v_fma_f64 v[10:11], s[20:21], v[104:105], v[8:9]
	v_add_f64 v[14:15], v[14:15], v[18:19]
	v_mul_f64 v[22:23], v[128:129], s[34:35]
	v_fma_f64 v[28:29], v[118:119], s[18:19], -v[26:27]
	v_add_f64 v[40:41], v[2:3], v[0:1]
	v_mul_f64 v[0:1], v[88:89], s[16:17]
	v_fma_f64 v[6:7], s[24:25], v[86:87], v[4:5]
	v_add_f64 v[10:11], v[10:11], v[14:15]
	v_mul_f64 v[18:19], v[126:127], s[30:31]
	v_fma_f64 v[24:25], v[116:117], s[2:3], -v[22:23]
	v_add_f64 v[28:29], v[32:33], v[28:29]
	v_fma_f64 v[2:3], s[14:15], v[80:81], v[0:1]
	v_add_f64 v[6:7], v[6:7], v[10:11]
	v_mul_f64 v[10:11], v[124:125], s[26:27]
	v_fma_f64 v[20:21], v[114:115], s[20:21], -v[18:19]
	v_add_f64 v[24:25], v[24:25], v[28:29]
	v_add_f64 v[46:47], v[2:3], v[6:7]
	v_mul_f64 v[2:3], v[122:123], s[16:17]
	v_fma_f64 v[14:15], v[112:113], s[24:25], -v[10:11]
	v_add_f64 v[20:21], v[20:21], v[24:25]
	v_fma_f64 v[6:7], v[110:111], s[14:15], -v[2:3]
	v_add_f64 v[14:15], v[14:15], v[20:21]
	v_add_f64 v[44:45], v[6:7], v[14:15]
	v_fma_f64 v[6:7], v[104:105], s[20:21], -v[8:9]
	v_fma_f64 v[8:9], v[100:101], s[2:3], -v[12:13]
	;; [unrolled: 1-line block ×3, first 2 shown]
	v_add_f64 v[12:13], v[34:35], v[12:13]
	v_add_f64 v[8:9], v[8:9], v[12:13]
	v_fma_f64 v[4:5], v[86:87], s[24:25], -v[4:5]
	v_add_f64 v[6:7], v[6:7], v[8:9]
	v_fma_f64 v[0:1], v[80:81], s[14:15], -v[0:1]
	v_add_f64 v[4:5], v[4:5], v[6:7]
	v_fmac_f64_e32 v[26:27], s[18:19], v[118:119]
	v_add_f64 v[50:51], v[0:1], v[4:5]
	v_fmac_f64_e32 v[22:23], s[2:3], v[116:117]
	v_add_f64 v[0:1], v[32:33], v[26:27]
	v_fmac_f64_e32 v[18:19], s[20:21], v[114:115]
	v_add_f64 v[0:1], v[22:23], v[0:1]
	s_mov_b32 s37, 0x3fd207e7
	s_mov_b32 s36, s26
	v_mul_f64 v[16:17], v[120:121], s[4:5]
	v_add_f64 v[0:1], v[18:19], v[0:1]
	v_mul_f64 v[12:13], v[106:107], s[36:37]
	v_fma_f64 v[18:19], s[2:3], v[102:103], v[16:17]
	v_fma_f64 v[16:17], v[102:103], s[2:3], -v[16:17]
	v_fmac_f64_e32 v[10:11], s[24:25], v[112:113]
	v_mul_f64 v[8:9], v[108:109], s[16:17]
	v_fma_f64 v[14:15], s[24:25], v[100:101], v[12:13]
	v_fma_f64 v[12:13], v[100:101], s[24:25], -v[12:13]
	v_add_f64 v[16:17], v[34:35], v[16:17]
	v_fmac_f64_e32 v[2:3], s[14:15], v[110:111]
	v_add_f64 v[0:1], v[10:11], v[0:1]
	v_mul_f64 v[6:7], v[98:99], s[30:31]
	v_fma_f64 v[10:11], s[14:15], v[104:105], v[8:9]
	v_fma_f64 v[8:9], v[104:105], s[14:15], -v[8:9]
	v_add_f64 v[12:13], v[12:13], v[16:17]
	v_add_f64 v[48:49], v[2:3], v[0:1]
	v_mul_f64 v[4:5], v[88:89], s[22:23]
	v_fma_f64 v[2:3], s[20:21], v[86:87], v[6:7]
	v_mul_f64 v[28:29], v[130:131], s[4:5]
	v_fma_f64 v[6:7], v[86:87], s[20:21], -v[6:7]
	v_add_f64 v[8:9], v[8:9], v[12:13]
	v_fma_f64 v[0:1], s[18:19], v[80:81], v[4:5]
	v_add_f64 v[18:19], v[34:35], v[18:19]
	v_mul_f64 v[24:25], v[128:129], s[36:37]
	v_fma_f64 v[30:31], v[118:119], s[2:3], -v[28:29]
	v_fma_f64 v[4:5], v[80:81], s[18:19], -v[4:5]
	v_add_f64 v[6:7], v[6:7], v[8:9]
	v_fmac_f64_e32 v[28:29], s[2:3], v[118:119]
	v_add_f64 v[14:15], v[14:15], v[18:19]
	v_mul_f64 v[20:21], v[126:127], s[16:17]
	v_fma_f64 v[26:27], v[116:117], s[24:25], -v[24:25]
	v_add_f64 v[30:31], v[32:33], v[30:31]
	v_add_f64 v[6:7], v[4:5], v[6:7]
	v_fmac_f64_e32 v[24:25], s[24:25], v[116:117]
	v_add_f64 v[4:5], v[32:33], v[28:29]
	s_mov_b32 s17, 0xbfed1bb4
	v_add_f64 v[10:11], v[10:11], v[14:15]
	v_mul_f64 v[14:15], v[124:125], s[30:31]
	v_fma_f64 v[22:23], v[114:115], s[14:15], -v[20:21]
	v_add_f64 v[26:27], v[26:27], v[30:31]
	v_fmac_f64_e32 v[20:21], s[14:15], v[114:115]
	v_add_f64 v[4:5], v[24:25], v[4:5]
	v_mul_f64 v[24:25], v[120:121], s[16:17]
	v_add_f64 v[2:3], v[2:3], v[10:11]
	v_mul_f64 v[10:11], v[122:123], s[22:23]
	v_fma_f64 v[18:19], v[112:113], s[20:21], -v[14:15]
	v_add_f64 v[22:23], v[22:23], v[26:27]
	v_add_f64 v[4:5], v[20:21], v[4:5]
	v_mul_f64 v[20:21], v[106:107], s[22:23]
	v_fma_f64 v[26:27], s[14:15], v[102:103], v[24:25]
	v_fma_f64 v[24:25], v[102:103], s[14:15], -v[24:25]
	v_add_f64 v[2:3], v[0:1], v[2:3]
	v_fma_f64 v[0:1], v[110:111], s[18:19], -v[10:11]
	v_add_f64 v[18:19], v[18:19], v[22:23]
	v_fmac_f64_e32 v[14:15], s[20:21], v[112:113]
	v_mul_f64 v[16:17], v[108:109], s[36:37]
	v_fma_f64 v[22:23], s[18:19], v[100:101], v[20:21]
	v_fma_f64 v[20:21], v[100:101], s[18:19], -v[20:21]
	v_add_f64 v[24:25], v[34:35], v[24:25]
	v_add_f64 v[0:1], v[0:1], v[18:19]
	v_fmac_f64_e32 v[10:11], s[18:19], v[110:111]
	v_add_f64 v[4:5], v[14:15], v[4:5]
	v_mul_f64 v[14:15], v[98:99], s[34:35]
	v_fma_f64 v[18:19], s[24:25], v[104:105], v[16:17]
	v_fma_f64 v[16:17], v[104:105], s[24:25], -v[16:17]
	v_add_f64 v[20:21], v[20:21], v[24:25]
	v_add_f64 v[4:5], v[10:11], v[4:5]
	v_mul_f64 v[12:13], v[88:89], s[28:29]
	v_fma_f64 v[10:11], s[2:3], v[86:87], v[14:15]
	v_mul_f64 v[136:137], v[130:131], s[16:17]
	v_fma_f64 v[14:15], v[86:87], s[2:3], -v[14:15]
	v_add_f64 v[16:17], v[16:17], v[20:21]
	v_fma_f64 v[8:9], s[20:21], v[80:81], v[12:13]
	v_add_f64 v[26:27], v[34:35], v[26:27]
	v_mul_f64 v[132:133], v[128:129], s[22:23]
	v_fma_f64 v[138:139], v[118:119], s[14:15], -v[136:137]
	v_fma_f64 v[12:13], v[80:81], s[20:21], -v[12:13]
	v_add_f64 v[14:15], v[14:15], v[16:17]
	v_fmac_f64_e32 v[136:137], s[14:15], v[118:119]
	v_add_f64 v[22:23], v[22:23], v[26:27]
	v_mul_f64 v[28:29], v[126:127], s[36:37]
	v_fma_f64 v[134:135], v[116:117], s[18:19], -v[132:133]
	v_add_f64 v[138:139], v[32:33], v[138:139]
	v_add_f64 v[14:15], v[12:13], v[14:15]
	v_fmac_f64_e32 v[132:133], s[18:19], v[116:117]
	v_add_f64 v[12:13], v[32:33], v[136:137]
	v_add_f64 v[18:19], v[18:19], v[22:23]
	v_mul_f64 v[22:23], v[124:125], s[34:35]
	v_fma_f64 v[30:31], v[114:115], s[24:25], -v[28:29]
	v_add_f64 v[134:135], v[134:135], v[138:139]
	v_fmac_f64_e32 v[28:29], s[24:25], v[114:115]
	v_add_f64 v[12:13], v[132:133], v[12:13]
	v_mul_f64 v[20:21], v[88:89], s[26:27]
	v_mul_f64 v[88:89], v[120:121], s[30:31]
	v_add_f64 v[10:11], v[10:11], v[18:19]
	v_mul_f64 v[18:19], v[122:123], s[28:29]
	v_fma_f64 v[26:27], v[112:113], s[2:3], -v[22:23]
	v_add_f64 v[30:31], v[30:31], v[134:135]
	v_add_f64 v[12:13], v[28:29], v[12:13]
	v_fma_f64 v[16:17], s[24:25], v[80:81], v[20:21]
	v_mul_f64 v[28:29], v[106:107], s[16:17]
	v_fma_f64 v[20:21], v[80:81], s[24:25], -v[20:21]
	v_fma_f64 v[80:81], v[102:103], s[20:21], -v[88:89]
	v_add_f64 v[10:11], v[8:9], v[10:11]
	v_fma_f64 v[8:9], v[110:111], s[20:21], -v[18:19]
	v_add_f64 v[26:27], v[26:27], v[30:31]
	v_fmac_f64_e32 v[22:23], s[2:3], v[112:113]
	v_mul_f64 v[24:25], v[108:109], s[4:5]
	v_fma_f64 v[30:31], s[14:15], v[100:101], v[28:29]
	v_fma_f64 v[28:29], v[100:101], s[14:15], -v[28:29]
	v_add_f64 v[80:81], v[34:35], v[80:81]
	v_add_f64 v[8:9], v[8:9], v[26:27]
	v_fmac_f64_e32 v[18:19], s[20:21], v[110:111]
	v_add_f64 v[12:13], v[22:23], v[12:13]
	v_mul_f64 v[22:23], v[98:99], s[22:23]
	v_fma_f64 v[26:27], s[2:3], v[104:105], v[24:25]
	v_fma_f64 v[24:25], v[104:105], s[2:3], -v[24:25]
	v_add_f64 v[28:29], v[28:29], v[80:81]
	v_add_f64 v[12:13], v[18:19], v[12:13]
	v_fma_f64 v[18:19], s[18:19], v[86:87], v[22:23]
	v_fma_f64 v[22:23], v[86:87], s[18:19], -v[22:23]
	v_add_f64 v[24:25], v[24:25], v[28:29]
	v_fma_f64 v[98:99], s[20:21], v[102:103], v[88:89]
	v_add_f64 v[22:23], v[22:23], v[24:25]
	v_add_f64 v[24:25], v[34:35], v[94:95]
	;; [unrolled: 1-line block ×7, first 2 shown]
	v_mul_f64 v[30:31], v[124:125], s[22:23]
	v_mul_f64 v[124:125], v[130:131], s[30:31]
	v_add_f64 v[24:25], v[24:25], v[78:79]
	v_mul_f64 v[106:107], v[126:127], s[4:5]
	v_mul_f64 v[120:121], v[128:129], s[16:17]
	v_fma_f64 v[126:127], v[118:119], s[20:21], -v[124:125]
	v_fmac_f64_e32 v[124:125], s[20:21], v[118:119]
	v_add_f64 v[24:25], v[24:25], v[76:77]
	v_add_f64 v[18:19], v[18:19], v[26:27]
	v_mul_f64 v[26:27], v[122:123], s[26:27]
	v_fma_f64 v[122:123], v[116:117], s[14:15], -v[120:121]
	v_add_f64 v[22:23], v[20:21], v[22:23]
	v_fmac_f64_e32 v[120:121], s[14:15], v[116:117]
	v_add_f64 v[20:21], v[32:33], v[124:125]
	v_add_f64 v[24:25], v[24:25], v[64:65]
	v_fma_f64 v[108:109], v[114:115], s[2:3], -v[106:107]
	v_fmac_f64_e32 v[106:107], s[2:3], v[114:115]
	v_add_f64 v[20:21], v[120:121], v[20:21]
	v_add_f64 v[24:25], v[24:25], v[54:55]
	v_fma_f64 v[98:99], v[112:113], s[18:19], -v[30:31]
	v_fmac_f64_e32 v[30:31], s[18:19], v[112:113]
	v_add_f64 v[20:21], v[106:107], v[20:21]
	v_add_f64 v[24:25], v[24:25], v[70:71]
	;; [unrolled: 1-line block ×3, first 2 shown]
	v_fma_f64 v[16:17], v[110:111], s[24:25], -v[26:27]
	v_fmac_f64_e32 v[26:27], s[24:25], v[110:111]
	v_add_f64 v[20:21], v[30:31], v[20:21]
	v_add_f64 v[24:25], v[24:25], v[58:59]
	;; [unrolled: 1-line block ×16, first 2 shown]
	v_mov_b32_e32 v130, v140
	v_add_f64 v[98:99], v[98:99], v[108:109]
	v_add_f64 v[24:25], v[24:25], v[56:57]
	;; [unrolled: 1-line block ×3, first 2 shown]
	ds_write_b128 v180, v[24:27]
	ds_write_b128 v180, v[20:23] offset:1440
	ds_write_b128 v180, v[12:15] offset:2880
	;; [unrolled: 1-line block ×10, first 2 shown]
.LBB0_29:
	s_or_b64 exec, exec, s[0:1]
	s_waitcnt lgkmcnt(0)
	s_barrier
	ds_read_b128 v[0:3], v180
	v_accvgpr_read_b32 v6, a20
	v_mad_u64_u32 v[14:15], s[0:1], s10, v6, 0
	v_mov_b32_e32 v4, v15
	v_accvgpr_read_b32 v19, a11
	v_mad_u64_u32 v[4:5], s[0:1], s11, v6, v[4:5]
	v_accvgpr_read_b32 v18, a10
	v_mov_b32_e32 v15, v4
	ds_read_b128 v[4:7], v180 offset:1760
	v_accvgpr_read_b32 v17, a9
	v_accvgpr_read_b32 v16, a8
	s_waitcnt lgkmcnt(1)
	v_mul_f64 v[8:9], v[18:19], v[2:3]
	v_fmac_f64_e32 v[8:9], v[16:17], v[0:1]
	s_mov_b32 s0, 0xb37565e2
	v_mul_f64 v[0:1], v[18:19], v[0:1]
	s_mov_b32 s1, 0x3f508cab
	v_fma_f64 v[0:1], v[16:17], v[2:3], -v[0:1]
	v_mad_u64_u32 v[16:17], s[2:3], s8, v130, 0
	v_mul_f64 v[10:11], v[0:1], s[0:1]
	v_mov_b32_e32 v0, v17
	v_mad_u64_u32 v[0:1], s[2:3], s9, v130, v[0:1]
	v_mov_b32_e32 v17, v0
	ds_read_b128 v[0:3], v180 offset:7920
	v_mov_b32_e32 v12, s12
	v_mov_b32_e32 v13, s13
	v_lshl_add_u64 v[12:13], v[14:15], 4, v[12:13]
	v_accvgpr_read_b32 v21, a7
	v_mul_f64 v[8:9], v[8:9], s[0:1]
	v_lshl_add_u64 v[16:17], v[16:17], 4, v[12:13]
	v_accvgpr_read_b32 v20, a6
	global_store_dwordx4 v[16:17], v[8:11], off
	ds_read_b128 v[8:11], v180 offset:9680
	v_accvgpr_read_b32 v19, a5
	v_accvgpr_read_b32 v18, a4
	s_waitcnt lgkmcnt(1)
	v_mul_f64 v[12:13], v[20:21], v[2:3]
	s_mul_i32 s2, s9, 0x1ef
	s_mul_hi_u32 s3, s8, 0x1ef
	v_fmac_f64_e32 v[12:13], v[18:19], v[0:1]
	v_mul_f64 v[0:1], v[20:21], v[0:1]
	s_add_i32 s3, s3, s2
	s_mul_i32 s2, s8, 0x1ef
	v_fma_f64 v[0:1], v[18:19], v[2:3], -v[0:1]
	s_lshl_b64 s[10:11], s[2:3], 4
	v_mul_f64 v[12:13], v[12:13], s[0:1]
	v_mul_f64 v[14:15], v[0:1], s[0:1]
	v_lshl_add_u64 v[16:17], v[16:17], 0, s[10:11]
	global_store_dwordx4 v[16:17], v[12:15], off
	s_mul_hi_u32 s5, s8, 0xfffffe7f
	s_mul_i32 s4, s9, 0xfffffe7f
	v_accvgpr_read_b32 v12, a26
	v_accvgpr_read_b32 v14, a28
	;; [unrolled: 1-line block ×3, first 2 shown]
	s_sub_i32 s5, s5, s8
	v_accvgpr_read_b32 v13, a27
	v_mul_f64 v[0:1], v[14:15], v[6:7]
	v_mul_f64 v[2:3], v[14:15], v[4:5]
	s_add_i32 s5, s5, s4
	s_mul_i32 s4, s8, 0xfffffe7f
	v_fmac_f64_e32 v[0:1], v[12:13], v[4:5]
	v_fma_f64 v[2:3], v[12:13], v[6:7], -v[2:3]
	s_lshl_b64 s[8:9], s[4:5], 4
	v_accvgpr_read_b32 v4, a34
	v_mul_f64 v[0:1], v[0:1], s[0:1]
	v_mul_f64 v[2:3], v[2:3], s[0:1]
	v_lshl_add_u64 v[12:13], v[16:17], 0, s[8:9]
	v_accvgpr_read_b32 v6, a36
	v_accvgpr_read_b32 v7, a37
	global_store_dwordx4 v[12:13], v[0:3], off
	v_accvgpr_read_b32 v5, a35
	v_accvgpr_read_b32 v14, a16
	s_waitcnt lgkmcnt(0)
	v_mul_f64 v[0:1], v[6:7], v[10:11]
	v_mul_f64 v[2:3], v[6:7], v[8:9]
	v_fmac_f64_e32 v[0:1], v[4:5], v[8:9]
	v_fma_f64 v[2:3], v[4:5], v[10:11], -v[2:3]
	ds_read_b128 v[4:7], v180 offset:3520
	v_mul_f64 v[0:1], v[0:1], s[0:1]
	v_mul_f64 v[2:3], v[2:3], s[0:1]
	v_lshl_add_u64 v[12:13], v[12:13], 0, s[10:11]
	v_accvgpr_read_b32 v16, a18
	v_accvgpr_read_b32 v17, a19
	global_store_dwordx4 v[12:13], v[0:3], off
	ds_read_b128 v[0:3], v180 offset:5280
	v_accvgpr_read_b32 v15, a17
	s_waitcnt lgkmcnt(1)
	v_mul_f64 v[8:9], v[16:17], v[6:7]
	v_fmac_f64_e32 v[8:9], v[14:15], v[4:5]
	v_mul_f64 v[4:5], v[16:17], v[4:5]
	v_fma_f64 v[10:11], v[14:15], v[6:7], -v[4:5]
	ds_read_b128 v[4:7], v180 offset:11440
	v_accvgpr_read_b32 v21, a15
	v_mul_f64 v[8:9], v[8:9], s[0:1]
	v_mul_f64 v[10:11], v[10:11], s[0:1]
	v_lshl_add_u64 v[16:17], v[12:13], 0, s[8:9]
	v_accvgpr_read_b32 v20, a14
	global_store_dwordx4 v[16:17], v[8:11], off
	ds_read_b128 v[8:11], v180 offset:13200
	v_accvgpr_read_b32 v19, a13
	v_accvgpr_read_b32 v18, a12
	s_waitcnt lgkmcnt(1)
	v_mul_f64 v[12:13], v[20:21], v[6:7]
	v_fmac_f64_e32 v[12:13], v[18:19], v[4:5]
	v_mul_f64 v[4:5], v[20:21], v[4:5]
	v_fma_f64 v[4:5], v[18:19], v[6:7], -v[4:5]
	v_mul_f64 v[12:13], v[12:13], s[0:1]
	v_mul_f64 v[14:15], v[4:5], s[0:1]
	v_lshl_add_u64 v[16:17], v[16:17], 0, s[10:11]
	global_store_dwordx4 v[16:17], v[12:15], off
	s_nop 1
	v_accvgpr_read_b32 v12, a22
	v_accvgpr_read_b32 v14, a24
	v_accvgpr_read_b32 v15, a25
	v_accvgpr_read_b32 v13, a23
	v_mul_f64 v[4:5], v[14:15], v[2:3]
	v_fmac_f64_e32 v[4:5], v[12:13], v[0:1]
	v_mul_f64 v[0:1], v[14:15], v[0:1]
	v_fma_f64 v[0:1], v[12:13], v[2:3], -v[0:1]
	v_accvgpr_read_b32 v12, a30
	v_mul_f64 v[4:5], v[4:5], s[0:1]
	v_mul_f64 v[6:7], v[0:1], s[0:1]
	v_lshl_add_u64 v[0:1], v[16:17], 0, s[8:9]
	v_accvgpr_read_b32 v14, a32
	v_accvgpr_read_b32 v15, a33
	global_store_dwordx4 v[0:1], v[4:7], off
	v_accvgpr_read_b32 v13, a31
	s_waitcnt lgkmcnt(0)
	v_mul_f64 v[2:3], v[14:15], v[10:11]
	v_mul_f64 v[4:5], v[14:15], v[8:9]
	v_fmac_f64_e32 v[2:3], v[12:13], v[8:9]
	v_fma_f64 v[4:5], v[12:13], v[10:11], -v[4:5]
	v_mul_f64 v[2:3], v[2:3], s[0:1]
	v_mul_f64 v[4:5], v[4:5], s[0:1]
	v_lshl_add_u64 v[0:1], v[0:1], 0, s[10:11]
	global_store_dwordx4 v[0:1], v[2:5], off
	s_and_b64 exec, exec, s[6:7]
	s_cbranch_execz .LBB0_31
; %bb.30:
	v_add_co_u32_e32 v2, vcc, 0x1000, v184
	s_movk_i32 s6, 0x3000
	s_nop 0
	v_addc_co_u32_e32 v3, vcc, 0, v185, vcc
	v_add_co_u32_e32 v6, vcc, s6, v184
	global_load_dwordx4 v[2:5], v[2:3], off offset:2944
	s_nop 0
	v_addc_co_u32_e32 v7, vcc, 0, v185, vcc
	global_load_dwordx4 v[6:9], v[6:7], off offset:2672
	ds_read_b128 v[10:13], v180 offset:7040
	ds_read_b128 v[14:17], v180 offset:14960
	v_lshl_add_u64 v[18:19], s[4:5], 4, v[0:1]
	v_lshl_add_u64 v[20:21], s[2:3], 4, v[18:19]
	s_waitcnt vmcnt(1) lgkmcnt(1)
	v_mul_f64 v[0:1], v[12:13], v[4:5]
	v_mul_f64 v[4:5], v[10:11], v[4:5]
	v_fmac_f64_e32 v[0:1], v[10:11], v[2:3]
	s_waitcnt vmcnt(0) lgkmcnt(0)
	v_mul_f64 v[22:23], v[16:17], v[8:9]
	v_mul_f64 v[8:9], v[14:15], v[8:9]
	v_fma_f64 v[2:3], v[2:3], v[12:13], -v[4:5]
	v_fmac_f64_e32 v[22:23], v[14:15], v[6:7]
	v_fma_f64 v[6:7], v[6:7], v[16:17], -v[8:9]
	v_mul_f64 v[0:1], v[0:1], s[0:1]
	v_mul_f64 v[2:3], v[2:3], s[0:1]
	;; [unrolled: 1-line block ×4, first 2 shown]
	global_store_dwordx4 v[18:19], v[0:3], off
	global_store_dwordx4 v[20:21], v[4:7], off
.LBB0_31:
	s_endpgm
	.section	.rodata,"a",@progbits
	.p2align	6, 0x0
	.amdhsa_kernel bluestein_single_fwd_len990_dim1_dp_op_CI_CI
		.amdhsa_group_segment_fixed_size 15840
		.amdhsa_private_segment_fixed_size 0
		.amdhsa_kernarg_size 104
		.amdhsa_user_sgpr_count 2
		.amdhsa_user_sgpr_dispatch_ptr 0
		.amdhsa_user_sgpr_queue_ptr 0
		.amdhsa_user_sgpr_kernarg_segment_ptr 1
		.amdhsa_user_sgpr_dispatch_id 0
		.amdhsa_user_sgpr_kernarg_preload_length 0
		.amdhsa_user_sgpr_kernarg_preload_offset 0
		.amdhsa_user_sgpr_private_segment_size 0
		.amdhsa_uses_dynamic_stack 0
		.amdhsa_enable_private_segment 0
		.amdhsa_system_sgpr_workgroup_id_x 1
		.amdhsa_system_sgpr_workgroup_id_y 0
		.amdhsa_system_sgpr_workgroup_id_z 0
		.amdhsa_system_sgpr_workgroup_info 0
		.amdhsa_system_vgpr_workitem_id 0
		.amdhsa_next_free_vgpr 396
		.amdhsa_next_free_sgpr 48
		.amdhsa_accum_offset 256
		.amdhsa_reserve_vcc 1
		.amdhsa_float_round_mode_32 0
		.amdhsa_float_round_mode_16_64 0
		.amdhsa_float_denorm_mode_32 3
		.amdhsa_float_denorm_mode_16_64 3
		.amdhsa_dx10_clamp 1
		.amdhsa_ieee_mode 1
		.amdhsa_fp16_overflow 0
		.amdhsa_tg_split 0
		.amdhsa_exception_fp_ieee_invalid_op 0
		.amdhsa_exception_fp_denorm_src 0
		.amdhsa_exception_fp_ieee_div_zero 0
		.amdhsa_exception_fp_ieee_overflow 0
		.amdhsa_exception_fp_ieee_underflow 0
		.amdhsa_exception_fp_ieee_inexact 0
		.amdhsa_exception_int_div_zero 0
	.end_amdhsa_kernel
	.text
.Lfunc_end0:
	.size	bluestein_single_fwd_len990_dim1_dp_op_CI_CI, .Lfunc_end0-bluestein_single_fwd_len990_dim1_dp_op_CI_CI
                                        ; -- End function
	.section	.AMDGPU.csdata,"",@progbits
; Kernel info:
; codeLenInByte = 17512
; NumSgprs: 54
; NumVgprs: 256
; NumAgprs: 140
; TotalNumVgprs: 396
; ScratchSize: 0
; MemoryBound: 0
; FloatMode: 240
; IeeeMode: 1
; LDSByteSize: 15840 bytes/workgroup (compile time only)
; SGPRBlocks: 6
; VGPRBlocks: 49
; NumSGPRsForWavesPerEU: 54
; NumVGPRsForWavesPerEU: 396
; AccumOffset: 256
; Occupancy: 1
; WaveLimiterHint : 1
; COMPUTE_PGM_RSRC2:SCRATCH_EN: 0
; COMPUTE_PGM_RSRC2:USER_SGPR: 2
; COMPUTE_PGM_RSRC2:TRAP_HANDLER: 0
; COMPUTE_PGM_RSRC2:TGID_X_EN: 1
; COMPUTE_PGM_RSRC2:TGID_Y_EN: 0
; COMPUTE_PGM_RSRC2:TGID_Z_EN: 0
; COMPUTE_PGM_RSRC2:TIDIG_COMP_CNT: 0
; COMPUTE_PGM_RSRC3_GFX90A:ACCUM_OFFSET: 63
; COMPUTE_PGM_RSRC3_GFX90A:TG_SPLIT: 0
	.text
	.p2alignl 6, 3212836864
	.fill 256, 4, 3212836864
	.type	__hip_cuid_e8a7bcda51834037,@object ; @__hip_cuid_e8a7bcda51834037
	.section	.bss,"aw",@nobits
	.globl	__hip_cuid_e8a7bcda51834037
__hip_cuid_e8a7bcda51834037:
	.byte	0                               ; 0x0
	.size	__hip_cuid_e8a7bcda51834037, 1

	.ident	"AMD clang version 19.0.0git (https://github.com/RadeonOpenCompute/llvm-project roc-6.4.0 25133 c7fe45cf4b819c5991fe208aaa96edf142730f1d)"
	.section	".note.GNU-stack","",@progbits
	.addrsig
	.addrsig_sym __hip_cuid_e8a7bcda51834037
	.amdgpu_metadata
---
amdhsa.kernels:
  - .agpr_count:     140
    .args:
      - .actual_access:  read_only
        .address_space:  global
        .offset:         0
        .size:           8
        .value_kind:     global_buffer
      - .actual_access:  read_only
        .address_space:  global
        .offset:         8
        .size:           8
        .value_kind:     global_buffer
      - .actual_access:  read_only
        .address_space:  global
        .offset:         16
        .size:           8
        .value_kind:     global_buffer
      - .actual_access:  read_only
        .address_space:  global
        .offset:         24
        .size:           8
        .value_kind:     global_buffer
      - .actual_access:  read_only
        .address_space:  global
        .offset:         32
        .size:           8
        .value_kind:     global_buffer
      - .offset:         40
        .size:           8
        .value_kind:     by_value
      - .address_space:  global
        .offset:         48
        .size:           8
        .value_kind:     global_buffer
      - .address_space:  global
        .offset:         56
        .size:           8
        .value_kind:     global_buffer
      - .address_space:  global
        .offset:         64
        .size:           8
        .value_kind:     global_buffer
      - .address_space:  global
        .offset:         72
        .size:           8
        .value_kind:     global_buffer
      - .offset:         80
        .size:           4
        .value_kind:     by_value
      - .address_space:  global
        .offset:         88
        .size:           8
        .value_kind:     global_buffer
      - .address_space:  global
        .offset:         96
        .size:           8
        .value_kind:     global_buffer
    .group_segment_fixed_size: 15840
    .kernarg_segment_align: 8
    .kernarg_segment_size: 104
    .language:       OpenCL C
    .language_version:
      - 2
      - 0
    .max_flat_workgroup_size: 110
    .name:           bluestein_single_fwd_len990_dim1_dp_op_CI_CI
    .private_segment_fixed_size: 0
    .sgpr_count:     54
    .sgpr_spill_count: 0
    .symbol:         bluestein_single_fwd_len990_dim1_dp_op_CI_CI.kd
    .uniform_work_group_size: 1
    .uses_dynamic_stack: false
    .vgpr_count:     396
    .vgpr_spill_count: 0
    .wavefront_size: 64
amdhsa.target:   amdgcn-amd-amdhsa--gfx950
amdhsa.version:
  - 1
  - 2
...

	.end_amdgpu_metadata
